;; amdgpu-corpus repo=ROCm/rocSOLVER kind=compiled arch=gfx1100 opt=O3
	.text
	.amdgcn_target "amdgcn-amd-amdhsa--gfx1100"
	.amdhsa_code_object_version 6
	.section	.text._ZN9rocsolver6v33100L18getf2_panel_kernelIfiiPfEEvT0_S3_T2_lS3_lPS3_llPT1_S3_S3_S5_l,"axG",@progbits,_ZN9rocsolver6v33100L18getf2_panel_kernelIfiiPfEEvT0_S3_T2_lS3_lPS3_llPT1_S3_S3_S5_l,comdat
	.globl	_ZN9rocsolver6v33100L18getf2_panel_kernelIfiiPfEEvT0_S3_T2_lS3_lPS3_llPT1_S3_S3_S5_l ; -- Begin function _ZN9rocsolver6v33100L18getf2_panel_kernelIfiiPfEEvT0_S3_T2_lS3_lPS3_llPT1_S3_S3_S5_l
	.p2align	8
	.type	_ZN9rocsolver6v33100L18getf2_panel_kernelIfiiPfEEvT0_S3_T2_lS3_lPS3_llPT1_S3_S3_S5_l,@function
_ZN9rocsolver6v33100L18getf2_panel_kernelIfiiPfEEvT0_S3_T2_lS3_lPS3_llPT1_S3_S3_S5_l: ; @_ZN9rocsolver6v33100L18getf2_panel_kernelIfiiPfEEvT0_S3_T2_lS3_lPS3_llPT1_S3_S3_S5_l
; %bb.0:
	s_clause 0x1
	s_load_b128 s[4:7], s[0:1], 0x50
	s_load_b32 s3, s[0:1], 0x6c
	s_ashr_i32 s13, s15, 31
	s_mov_b32 s12, s15
	s_mov_b64 s[16:17], 0
	s_waitcnt lgkmcnt(0)
	s_cmp_eq_u64 s[4:5], 0
	s_cselect_b32 s22, -1, 0
	s_delay_alu instid0(SALU_CYCLE_1)
	s_and_b32 vcc_lo, exec_lo, s22
	s_cbranch_vccnz .LBB0_2
; %bb.1:
	s_mul_i32 s2, s12, s7
	s_mul_hi_u32 s7, s12, s6
	s_mul_i32 s8, s13, s6
	s_add_i32 s2, s7, s2
	s_mul_i32 s6, s12, s6
	s_add_i32 s7, s2, s8
	s_delay_alu instid0(SALU_CYCLE_1) | instskip(NEXT) | instid1(SALU_CYCLE_1)
	s_lshl_b64 s[6:7], s[6:7], 2
	s_add_u32 s16, s4, s6
	s_addc_u32 s17, s5, s7
.LBB0_2:
	s_clause 0x3
	s_load_b256 s[4:11], s[0:1], 0x20
	s_load_b128 s[24:27], s[0:1], 0x8
	s_load_b64 s[18:19], s[0:1], 0x0
	s_load_b64 s[14:15], s[0:1], 0x40
	s_and_b32 s30, s3, 0xffff
	v_bfe_u32 v6, v0, 10, 10
	v_and_b32_e32 v0, 0x3ff, v0
                                        ; implicit-def: $vgpr7
	s_waitcnt lgkmcnt(0)
	s_mul_i32 s2, s12, s5
	s_mul_hi_u32 s5, s12, s4
	s_mul_i32 s20, s13, s4
	s_add_i32 s2, s5, s2
	s_mul_i32 s4, s12, s4
	s_add_i32 s5, s2, s20
	s_delay_alu instid0(SALU_CYCLE_1) | instskip(NEXT) | instid1(SALU_CYCLE_1)
	s_lshl_b64 s[4:5], s[4:5], 2
	s_add_u32 s2, s24, s4
	s_addc_u32 s21, s25, s5
	s_lshl_b64 s[4:5], s[26:27], 2
	s_delay_alu instid0(SALU_CYCLE_1)
	s_add_u32 s20, s2, s4
	s_addc_u32 s21, s21, s5
	s_lshl_b32 s5, s30, 2
	s_lshl_b32 s23, s19, 2
	s_add_i32 s4, s5, 8
	v_cmp_eq_u32_e64 s2, 0, v6
	s_add_i32 s23, s4, s23
	s_delay_alu instid0(SALU_CYCLE_1) | instskip(NEXT) | instid1(VALU_DEP_1)
	s_add_i32 s5, s23, s5
	s_and_saveexec_b32 s24, s2
	s_cbranch_execz .LBB0_6
; %bb.3:
	v_mov_b32_e32 v1, 0
	s_mov_b32 s25, exec_lo
	v_cmpx_gt_i32_e64 s18, v0
	s_cbranch_execz .LBB0_5
; %bb.4:
	v_lshlrev_b32_e32 v1, 2, v0
	global_load_b32 v1, v1, s[20:21]
.LBB0_5:
	s_or_b32 exec_lo, exec_lo, s25
	v_lshlrev_b32_e32 v2, 2, v0
	s_waitcnt vmcnt(0)
	v_and_b32_e32 v7, 0x7fffffff, v1
	s_delay_alu instid0(VALU_DEP_2)
	v_add_nc_u32_e32 v3, 8, v2
	v_add_nc_u32_e32 v4, s23, v2
	;; [unrolled: 1-line block ×3, first 2 shown]
	ds_store_b32 v3, v1
	ds_store_b32 v4, v7
	;; [unrolled: 1-line block ×3, first 2 shown]
.LBB0_6:
	s_or_b32 exec_lo, exec_lo, s24
	s_load_b32 s24, s[0:1], 0x4c
	s_cmp_lt_i32 s19, 1
	s_cbranch_scc1 .LBB0_48
; %bb.7:
	s_mul_i32 s11, s12, s11
	s_mul_hi_u32 s25, s12, s10
	s_mul_i32 s26, s13, s10
	s_add_i32 s11, s25, s11
	s_load_b32 s25, s[0:1], 0x18
	s_add_i32 s11, s11, s26
	s_mul_i32 s10, s12, s10
	s_lshr_b32 s26, s3, 16
	s_lshl_b64 s[0:1], s[10:11], 2
	v_dual_mov_b32 v14, 0 :: v_dual_lshlrev_b32 v1, 2, v0
	s_add_u32 s3, s6, s0
	s_addc_u32 s6, s7, s1
	s_lshl_b64 s[0:1], s[8:9], 2
	s_delay_alu instid0(VALU_DEP_1)
	v_add_nc_u32_e32 v8, s23, v1
	s_add_u32 s27, s3, s0
	s_addc_u32 s28, s6, s1
	v_dual_mov_b32 v16, s5 :: v_dual_add_nc_u32 v9, s5, v1
	v_add_nc_u32_e32 v10, 8, v1
	v_add_nc_u32_e32 v12, s4, v1
	v_add_nc_u32_e32 v13, 2, v6
	v_add_co_u32 v1, s6, s16, v1
	v_or_b32_e32 v2, v0, v6
	v_lshlrev_b32_e32 v5, 2, v6
	s_waitcnt lgkmcnt(0)
	v_mul_lo_u32 v11, v0, s25
	v_mad_u64_u32 v[3:4], null, s25, v13, v[0:1]
	v_cmp_gt_u32_e32 vcc_lo, s19, v0
	s_lshr_b32 s29, s30, 1
	v_cmp_eq_u32_e64 s0, 0, v2
	v_cmp_gt_i32_e64 s1, s18, v0
	v_cmp_le_i32_e64 s3, s18, v0
	v_add_co_ci_u32_e64 v2, null, s17, 0, s6
	v_add3_u32 v15, s4, v5, 8
	s_cmp_gt_u32 s30, 1
	s_mov_b32 s7, 0
	s_mov_b64 s[8:9], src_shared_base
	s_cselect_b32 s30, -1, 0
	s_add_i32 s31, s24, 1
	s_and_b32 s33, s2, vcc_lo
	s_add_i32 s18, s19, -1
	s_add_i32 s34, s4, 4
	s_mul_i32 s35, s25, s26
	s_lshl_b32 s36, s26, 2
	s_mov_b32 s6, s7
	s_mov_b32 s8, s7
	s_branch .LBB0_9
.LBB0_8:                                ;   in Loop: Header=BB0_9 Depth=1
	s_or_b32 exec_lo, exec_lo, s4
	v_add_nc_u32_e32 v3, s25, v3
	v_add_nc_u32_e32 v15, 4, v15
	s_add_i32 s6, s6, 1
	s_delay_alu instid0(SALU_CYCLE_1)
	s_cmp_eq_u32 s6, s19
	s_cbranch_scc1 .LBB0_49
.LBB0_9:                                ; =>This Loop Header: Depth=1
                                        ;     Child Loop BB0_16 Depth 2
                                        ;     Child Loop BB0_41 Depth 2
	v_mov_b32_e32 v4, v0
	s_and_not1_b32 vcc_lo, exec_lo, s30
	s_mov_b32 s5, s29
	s_waitcnt lgkmcnt(0)
	s_waitcnt_vscnt null, 0x0
	s_barrier
	buffer_gl0_inv
	s_cbranch_vccnz .LBB0_18
	.p2align	6
; %bb.10:                               ;   in Loop: Header=BB0_9 Depth=1
	v_cmp_gt_u32_e32 vcc_lo, s5, v0
	s_and_b32 s4, s2, vcc_lo
	s_delay_alu instid0(SALU_CYCLE_1)
	s_and_saveexec_b32 s10, s4
	s_cbranch_execz .LBB0_16
.LBB0_11:                               ;   in Loop: Header=BB0_9 Depth=1
	s_lshl_b32 s4, s5, 2
	s_mov_b32 s37, exec_lo
	v_add_nc_u32_e32 v5, s4, v8
	v_add_nc_u32_e32 v17, s4, v9
	ds_load_b32 v5, v5
	ds_load_b32 v17, v17
	s_waitcnt lgkmcnt(1)
	v_cmp_lt_f32_e64 s11, v7, v5
	v_cmpx_nlt_f32_e32 v7, v5
	s_cbranch_execz .LBB0_13
; %bb.12:                               ;   in Loop: Header=BB0_9 Depth=1
	v_cmp_eq_f32_e32 vcc_lo, v7, v5
	s_waitcnt lgkmcnt(0)
	v_cmp_gt_i32_e64 s4, v4, v17
	s_and_not1_b32 s11, s11, exec_lo
	s_delay_alu instid0(VALU_DEP_1) | instskip(NEXT) | instid1(SALU_CYCLE_1)
	s_and_b32 s4, vcc_lo, s4
	s_and_b32 s4, s4, exec_lo
	s_delay_alu instid0(SALU_CYCLE_1)
	s_or_b32 s11, s11, s4
.LBB0_13:                               ;   in Loop: Header=BB0_9 Depth=1
	s_or_b32 exec_lo, exec_lo, s37
	s_delay_alu instid0(VALU_DEP_2)
	s_and_saveexec_b32 s4, s11
	s_cbranch_execz .LBB0_15
; %bb.14:                               ;   in Loop: Header=BB0_9 Depth=1
	v_mov_b32_e32 v7, v5
	s_waitcnt lgkmcnt(0)
	v_mov_b32_e32 v4, v17
	ds_store_b32 v8, v5
	ds_store_b32 v9, v17
.LBB0_15:                               ;   in Loop: Header=BB0_9 Depth=1
	s_or_b32 exec_lo, exec_lo, s4
.LBB0_16:                               ;   Parent Loop BB0_9 Depth=1
                                        ; =>  This Inner Loop Header: Depth=2
	s_delay_alu instid0(SALU_CYCLE_1)
	s_or_b32 exec_lo, exec_lo, s10
	s_lshr_b32 s4, s5, 1
	s_cmp_lt_u32 s5, 2
	s_waitcnt lgkmcnt(0)
	s_barrier
	buffer_gl0_inv
	s_cbranch_scc1 .LBB0_18
; %bb.17:                               ;   in Loop: Header=BB0_16 Depth=2
	s_mov_b32 s5, s4
	s_delay_alu instid0(SALU_CYCLE_1) | instskip(SKIP_1) | instid1(SALU_CYCLE_1)
	v_cmp_gt_u32_e32 vcc_lo, s5, v0
	s_and_b32 s4, s2, vcc_lo
	s_and_saveexec_b32 s10, s4
	s_cbranch_execnz .LBB0_11
	s_branch .LBB0_16
.LBB0_18:                               ;   in Loop: Header=BB0_9 Depth=1
	ds_load_b32 v5, v16
	s_waitcnt lgkmcnt(0)
	v_lshlrev_b32_e32 v4, 2, v5
	v_readfirstlane_b32 s10, v5
	s_delay_alu instid0(VALU_DEP_2)
	v_add_nc_u32_e32 v4, 8, v4
	ds_load_b32 v4, v4
	s_waitcnt lgkmcnt(0)
	v_cmp_neq_f32_e32 vcc_lo, 0, v4
	s_cbranch_vccz .LBB0_47
; %bb.19:                               ;   in Loop: Header=BB0_9 Depth=1
	v_div_scale_f32 v5, null, v4, v4, 1.0
	s_delay_alu instid0(VALU_DEP_1) | instskip(SKIP_2) | instid1(VALU_DEP_1)
	v_rcp_f32_e32 v17, v5
	s_waitcnt_depctr 0xfff
	v_fma_f32 v18, -v5, v17, 1.0
	v_fmac_f32_e32 v17, v18, v17
	v_div_scale_f32 v18, vcc_lo, 1.0, v4, 1.0
	s_delay_alu instid0(VALU_DEP_1) | instskip(NEXT) | instid1(VALU_DEP_1)
	v_mul_f32_e32 v19, v18, v17
	v_fma_f32 v20, -v5, v19, v18
	s_delay_alu instid0(VALU_DEP_1) | instskip(NEXT) | instid1(VALU_DEP_1)
	v_fmac_f32_e32 v19, v20, v17
	v_fma_f32 v5, -v5, v19, v18
	s_delay_alu instid0(VALU_DEP_1) | instskip(NEXT) | instid1(VALU_DEP_1)
	v_div_fmas_f32 v5, v5, v17, v19
	v_div_fixup_f32 v17, v5, v4, 1.0
	s_cbranch_execnz .LBB0_21
.LBB0_20:                               ;   in Loop: Header=BB0_9 Depth=1
	s_add_i32 s4, s6, 1
	v_mov_b32_e32 v17, v4
	s_cmp_eq_u32 s8, 0
	s_mov_b32 s10, s6
	s_cselect_b32 s8, s4, s8
.LBB0_21:                               ;   in Loop: Header=BB0_9 Depth=1
	s_and_saveexec_b32 s4, s0
	s_cbranch_execz .LBB0_23
; %bb.22:                               ;   in Loop: Header=BB0_9 Depth=1
	s_lshl_b64 s[38:39], s[6:7], 2
	s_delay_alu instid0(SALU_CYCLE_1) | instskip(SKIP_2) | instid1(SALU_CYCLE_1)
	s_add_u32 s38, s27, s38
	s_addc_u32 s39, s28, s39
	s_add_i32 s5, s31, s10
	v_mov_b32_e32 v4, s5
	global_store_b32 v14, v4, s[38:39]
.LBB0_23:                               ;   in Loop: Header=BB0_9 Depth=1
	s_or_b32 exec_lo, exec_lo, s4
	v_cmp_eq_u32_e32 vcc_lo, s10, v0
	s_mov_b32 s5, exec_lo
	v_cmpx_ne_u32_e64 s10, v0
	s_cbranch_execz .LBB0_27
; %bb.24:                               ;   in Loop: Header=BB0_9 Depth=1
	ds_load_b32 v4, v10
	v_cmp_le_u32_e64 s4, s6, v0
	s_delay_alu instid0(VALU_DEP_1) | instskip(NEXT) | instid1(SALU_CYCLE_1)
	s_and_b32 s4, s1, s4
	s_and_b32 s4, s2, s4
	s_waitcnt lgkmcnt(0)
	v_mul_f32_e32 v17, v17, v4
	s_and_saveexec_b32 s11, s4
	s_cbranch_execz .LBB0_26
; %bb.25:                               ;   in Loop: Header=BB0_9 Depth=1
	v_mad_u64_u32 v[4:5], null, s6, s25, v[0:1]
	s_delay_alu instid0(VALU_DEP_1) | instskip(NEXT) | instid1(VALU_DEP_1)
	v_ashrrev_i32_e32 v5, 31, v4
	v_lshlrev_b64 v[4:5], 2, v[4:5]
	s_delay_alu instid0(VALU_DEP_1) | instskip(NEXT) | instid1(VALU_DEP_1)
	v_add_co_u32 v4, s4, s20, v4
	v_add_co_ci_u32_e64 v5, s4, s21, v5, s4
	global_store_b32 v[4:5], v17, off
.LBB0_26:                               ;   in Loop: Header=BB0_9 Depth=1
	s_or_b32 exec_lo, exec_lo, s11
.LBB0_27:                               ;   in Loop: Header=BB0_9 Depth=1
	s_delay_alu instid0(SALU_CYCLE_1) | instskip(SKIP_1) | instid1(VALU_DEP_1)
	s_or_b32 exec_lo, exec_lo, s5
	v_add_nc_u32_e32 v4, s10, v11
	v_ashrrev_i32_e32 v5, 31, v4
	s_and_saveexec_b32 s5, s33
	s_cbranch_execz .LBB0_30
; %bb.28:                               ;   in Loop: Header=BB0_9 Depth=1
	s_delay_alu instid0(VALU_DEP_1) | instskip(NEXT) | instid1(VALU_DEP_1)
	v_lshlrev_b64 v[18:19], 2, v[4:5]
	v_add_co_u32 v18, s4, s20, v18
	s_delay_alu instid0(VALU_DEP_1)
	v_add_co_ci_u32_e64 v19, s4, s21, v19, s4
	v_cmp_eq_u32_e64 s4, s6, v0
	global_load_b32 v18, v[18:19], off
	s_waitcnt vmcnt(0)
	ds_store_b32 v12, v18
	s_and_b32 exec_lo, exec_lo, s4
	s_cbranch_execz .LBB0_30
; %bb.29:                               ;   in Loop: Header=BB0_9 Depth=1
	ds_store_b32 v14, v17
.LBB0_30:                               ;   in Loop: Header=BB0_9 Depth=1
	s_or_b32 exec_lo, exec_lo, s5
	s_cmp_lg_u32 s10, s6
	s_waitcnt lgkmcnt(0)
	s_waitcnt_vscnt null, 0x0
	s_cselect_b32 s4, -1, 0
	s_barrier
	s_and_b32 s4, s33, s4
	buffer_gl0_inv
	s_and_saveexec_b32 s37, s4
	s_cbranch_execz .LBB0_36
; %bb.31:                               ;   in Loop: Header=BB0_9 Depth=1
	v_add_nc_u32_e32 v18, s6, v11
	v_cmp_lt_u32_e64 s5, s6, v0
	v_lshlrev_b64 v[4:5], 2, v[4:5]
	s_add_i32 s11, s6, 1
	s_delay_alu instid0(VALU_DEP_3) | instskip(NEXT) | instid1(VALU_DEP_1)
	v_ashrrev_i32_e32 v19, 31, v18
	v_lshlrev_b64 v[18:19], 2, v[18:19]
	s_delay_alu instid0(VALU_DEP_1) | instskip(NEXT) | instid1(VALU_DEP_1)
	v_add_co_u32 v18, s4, s20, v18
	v_add_co_ci_u32_e64 v19, s4, s21, v19, s4
	v_cmp_ne_u32_e64 s4, s6, v0
	s_delay_alu instid0(VALU_DEP_1) | instskip(NEXT) | instid1(VALU_DEP_4)
	v_cndmask_b32_e64 v21, s9, v19, s4
	v_cndmask_b32_e64 v20, 0, v18, s4
	flat_load_b32 v22, v[20:21]
	ds_load_b32 v23, v12
	ds_load_b32 v20, v14
	s_waitcnt lgkmcnt(0)
	v_mul_f32_e32 v20, v20, v23
	s_delay_alu instid0(VALU_DEP_1) | instskip(SKIP_1) | instid1(VALU_DEP_1)
	v_cndmask_b32_e64 v24, 0, v20, s5
	v_add_co_u32 v20, s5, s20, v4
	v_add_co_ci_u32_e64 v21, s5, s21, v5, s5
	v_cmp_eq_u32_e64 s5, s11, v0
	s_waitcnt vmcnt(0)
	v_sub_f32_e32 v4, v22, v24
	s_clause 0x1
	global_store_b32 v[20:21], v4, off
	global_store_b32 v[18:19], v23, off
	s_and_saveexec_b32 s11, s5
	s_cbranch_execz .LBB0_33
; %bb.32:                               ;   in Loop: Header=BB0_9 Depth=1
	s_lshl_b32 s5, s10, 2
	s_delay_alu instid0(SALU_CYCLE_1) | instskip(SKIP_1) | instid1(SALU_CYCLE_1)
	s_add_i32 s38, s5, 8
	s_add_i32 s5, s23, s5
	v_dual_mov_b32 v18, s5 :: v_dual_and_b32 v7, 0x7fffffff, v4
	v_mov_b32_e32 v5, s38
	ds_store_b32 v5, v4
	ds_store_b32 v18, v7
.LBB0_33:                               ;   in Loop: Header=BB0_9 Depth=1
	s_or_b32 exec_lo, exec_lo, s11
	s_or_b32 s4, s22, s4
	s_delay_alu instid0(SALU_CYCLE_1) | instskip(NEXT) | instid1(SALU_CYCLE_1)
	s_xor_b32 s5, s4, -1
	s_and_saveexec_b32 s4, s5
	s_cbranch_execz .LBB0_35
; %bb.34:                               ;   in Loop: Header=BB0_9 Depth=1
	s_ashr_i32 s11, s10, 31
	s_delay_alu instid0(SALU_CYCLE_1) | instskip(NEXT) | instid1(SALU_CYCLE_1)
	s_lshl_b64 s[10:11], s[10:11], 2
	s_add_u32 s10, s16, s10
	s_addc_u32 s11, s17, s11
	s_delay_alu instid0(SALU_CYCLE_1)
	v_dual_mov_b32 v4, s10 :: v_dual_mov_b32 v5, s11
	s_clause 0x1
	flat_load_b32 v18, v[4:5]
	flat_load_b32 v19, v[1:2]
	s_waitcnt vmcnt(1) lgkmcnt(1)
	flat_store_b32 v[1:2], v18
	s_waitcnt vmcnt(0) lgkmcnt(1)
	flat_store_b32 v[4:5], v19
.LBB0_35:                               ;   in Loop: Header=BB0_9 Depth=1
	s_or_b32 exec_lo, exec_lo, s4
.LBB0_36:                               ;   in Loop: Header=BB0_9 Depth=1
	s_delay_alu instid0(SALU_CYCLE_1) | instskip(SKIP_1) | instid1(VALU_DEP_1)
	s_or_b32 exec_lo, exec_lo, s37
	v_cmp_ge_u32_e64 s4, s6, v0
	s_or_b32 s5, s3, s4
	s_delay_alu instid0(SALU_CYCLE_1) | instskip(NEXT) | instid1(SALU_CYCLE_1)
	s_or_b32 s5, s5, vcc_lo
	s_xor_b32 s10, s5, -1
	s_delay_alu instid0(SALU_CYCLE_1)
	s_and_saveexec_b32 s5, s10
	s_cbranch_execnz .LBB0_39
; %bb.37:                               ;   in Loop: Header=BB0_9 Depth=1
	s_or_b32 exec_lo, exec_lo, s5
	s_and_b32 s5, s2, s4
	s_delay_alu instid0(SALU_CYCLE_1)
	s_and_saveexec_b32 s4, s5
	s_cbranch_execnz .LBB0_45
.LBB0_38:                               ;   in Loop: Header=BB0_9 Depth=1
	s_or_b32 exec_lo, exec_lo, s4
	s_and_saveexec_b32 s4, s2
	s_cbranch_execz .LBB0_8
	s_branch .LBB0_46
.LBB0_39:                               ;   in Loop: Header=BB0_9 Depth=1
	v_add_nc_u32_e32 v18, s6, v13
	s_mov_b32 s10, exec_lo
	s_delay_alu instid0(VALU_DEP_1)
	v_cmpx_gt_i32_e64 s19, v18
	s_cbranch_execz .LBB0_42
; %bb.40:                               ;   in Loop: Header=BB0_9 Depth=1
	v_mov_b32_e32 v19, v15
	v_mov_b32_e32 v4, v3
	s_mov_b32 s11, 0
	.p2align	6
.LBB0_41:                               ;   Parent Loop BB0_9 Depth=1
                                        ; =>  This Inner Loop Header: Depth=2
	s_delay_alu instid0(VALU_DEP_1)
	v_ashrrev_i32_e32 v5, 31, v4
	ds_load_b32 v22, v19
	v_add_nc_u32_e32 v18, s26, v18
	v_add_nc_u32_e32 v19, s36, v19
	v_lshlrev_b64 v[20:21], 2, v[4:5]
	v_add_nc_u32_e32 v4, s35, v4
	s_delay_alu instid0(VALU_DEP_2) | instskip(NEXT) | instid1(VALU_DEP_3)
	v_add_co_u32 v20, vcc_lo, s20, v20
	v_add_co_ci_u32_e32 v21, vcc_lo, s21, v21, vcc_lo
	v_cmp_le_i32_e32 vcc_lo, s19, v18
	global_load_b32 v5, v[20:21], off
	s_or_b32 s11, vcc_lo, s11
	s_waitcnt vmcnt(0) lgkmcnt(0)
	v_fma_f32 v5, -v17, v22, v5
	global_store_b32 v[20:21], v5, off
	s_and_not1_b32 exec_lo, exec_lo, s11
	s_cbranch_execnz .LBB0_41
.LBB0_42:                               ;   in Loop: Header=BB0_9 Depth=1
	s_or_b32 exec_lo, exec_lo, s10
	s_cmp_lt_i32 s6, s18
	s_cselect_b32 s10, -1, 0
	s_delay_alu instid0(SALU_CYCLE_1) | instskip(NEXT) | instid1(SALU_CYCLE_1)
	s_and_b32 s11, s2, s10
	s_and_saveexec_b32 s10, s11
	s_cbranch_execz .LBB0_44
; %bb.43:                               ;   in Loop: Header=BB0_9 Depth=1
	s_add_i32 s11, s6, 1
	s_delay_alu instid0(SALU_CYCLE_1) | instskip(SKIP_1) | instid1(SALU_CYCLE_1)
	v_mad_u64_u32 v[4:5], null, s11, s25, v[0:1]
	s_lshl_b32 s11, s6, 2
	s_add_i32 s11, s34, s11
	s_delay_alu instid0(SALU_CYCLE_1) | instskip(NEXT) | instid1(VALU_DEP_2)
	v_mov_b32_e32 v18, s11
	v_ashrrev_i32_e32 v5, 31, v4
	ds_load_b32 v18, v18
	v_lshlrev_b64 v[4:5], 2, v[4:5]
	s_delay_alu instid0(VALU_DEP_1) | instskip(NEXT) | instid1(VALU_DEP_2)
	v_add_co_u32 v4, vcc_lo, s20, v4
	v_add_co_ci_u32_e32 v5, vcc_lo, s21, v5, vcc_lo
	global_load_b32 v7, v[4:5], off
	s_waitcnt vmcnt(0) lgkmcnt(0)
	v_fma_f32 v17, -v17, v18, v7
	s_delay_alu instid0(VALU_DEP_1)
	v_and_b32_e32 v7, 0x7fffffff, v17
	global_store_b32 v[4:5], v17, off
	ds_store_b32 v10, v17
	ds_store_b32 v8, v7
.LBB0_44:                               ;   in Loop: Header=BB0_9 Depth=1
	s_or_b32 exec_lo, exec_lo, s10
	s_delay_alu instid0(SALU_CYCLE_1) | instskip(SKIP_1) | instid1(SALU_CYCLE_1)
	s_or_b32 exec_lo, exec_lo, s5
	s_and_b32 s5, s2, s4
	s_and_saveexec_b32 s4, s5
	s_cbranch_execz .LBB0_38
.LBB0_45:                               ;   in Loop: Header=BB0_9 Depth=1
	v_mov_b32_e32 v7, 0
	ds_store_b32 v10, v14
	ds_store_b32 v8, v14
	s_or_b32 exec_lo, exec_lo, s4
	s_and_saveexec_b32 s4, s2
	s_cbranch_execz .LBB0_8
.LBB0_46:                               ;   in Loop: Header=BB0_9 Depth=1
	ds_store_b32 v9, v0
	s_branch .LBB0_8
.LBB0_47:                               ;   in Loop: Header=BB0_9 Depth=1
                                        ; implicit-def: $sgpr10
                                        ; implicit-def: $vgpr17
	s_branch .LBB0_20
.LBB0_48:
	s_mov_b32 s8, 0
.LBB0_49:
	s_mov_b32 s0, exec_lo
	v_cmpx_eq_u32_e32 0, v0
	s_cbranch_execz .LBB0_52
; %bb.50:
	s_lshl_b64 s[0:1], s[12:13], 2
	v_mov_b32_e32 v0, 0
	s_add_u32 s0, s14, s0
	s_addc_u32 s1, s15, s1
	s_cmp_gt_i32 s8, 0
	global_load_b32 v1, v0, s[0:1]
	s_cselect_b32 s2, -1, 0
	s_waitcnt vmcnt(0)
	v_or_b32_e32 v1, v1, v6
	s_delay_alu instid0(VALU_DEP_1) | instskip(SKIP_1) | instid1(SALU_CYCLE_1)
	v_cmp_eq_u32_e32 vcc_lo, 0, v1
	s_and_b32 s2, vcc_lo, s2
	s_and_b32 exec_lo, exec_lo, s2
	s_cbranch_execz .LBB0_52
; %bb.51:
	s_waitcnt lgkmcnt(0)
	s_add_i32 s2, s8, s24
	s_delay_alu instid0(SALU_CYCLE_1)
	v_mov_b32_e32 v1, s2
	global_store_b32 v0, v1, s[0:1]
.LBB0_52:
	s_endpgm
	.section	.rodata,"a",@progbits
	.p2align	6, 0x0
	.amdhsa_kernel _ZN9rocsolver6v33100L18getf2_panel_kernelIfiiPfEEvT0_S3_T2_lS3_lPS3_llPT1_S3_S3_S5_l
		.amdhsa_group_segment_fixed_size 8
		.amdhsa_private_segment_fixed_size 0
		.amdhsa_kernarg_size 352
		.amdhsa_user_sgpr_count 14
		.amdhsa_user_sgpr_dispatch_ptr 0
		.amdhsa_user_sgpr_queue_ptr 0
		.amdhsa_user_sgpr_kernarg_segment_ptr 1
		.amdhsa_user_sgpr_dispatch_id 0
		.amdhsa_user_sgpr_private_segment_size 0
		.amdhsa_wavefront_size32 1
		.amdhsa_uses_dynamic_stack 0
		.amdhsa_enable_private_segment 0
		.amdhsa_system_sgpr_workgroup_id_x 1
		.amdhsa_system_sgpr_workgroup_id_y 0
		.amdhsa_system_sgpr_workgroup_id_z 1
		.amdhsa_system_sgpr_workgroup_info 0
		.amdhsa_system_vgpr_workitem_id 1
		.amdhsa_next_free_vgpr 25
		.amdhsa_next_free_sgpr 40
		.amdhsa_reserve_vcc 1
		.amdhsa_float_round_mode_32 0
		.amdhsa_float_round_mode_16_64 0
		.amdhsa_float_denorm_mode_32 3
		.amdhsa_float_denorm_mode_16_64 3
		.amdhsa_dx10_clamp 1
		.amdhsa_ieee_mode 1
		.amdhsa_fp16_overflow 0
		.amdhsa_workgroup_processor_mode 1
		.amdhsa_memory_ordered 1
		.amdhsa_forward_progress 0
		.amdhsa_shared_vgpr_count 0
		.amdhsa_exception_fp_ieee_invalid_op 0
		.amdhsa_exception_fp_denorm_src 0
		.amdhsa_exception_fp_ieee_div_zero 0
		.amdhsa_exception_fp_ieee_overflow 0
		.amdhsa_exception_fp_ieee_underflow 0
		.amdhsa_exception_fp_ieee_inexact 0
		.amdhsa_exception_int_div_zero 0
	.end_amdhsa_kernel
	.section	.text._ZN9rocsolver6v33100L18getf2_panel_kernelIfiiPfEEvT0_S3_T2_lS3_lPS3_llPT1_S3_S3_S5_l,"axG",@progbits,_ZN9rocsolver6v33100L18getf2_panel_kernelIfiiPfEEvT0_S3_T2_lS3_lPS3_llPT1_S3_S3_S5_l,comdat
.Lfunc_end0:
	.size	_ZN9rocsolver6v33100L18getf2_panel_kernelIfiiPfEEvT0_S3_T2_lS3_lPS3_llPT1_S3_S3_S5_l, .Lfunc_end0-_ZN9rocsolver6v33100L18getf2_panel_kernelIfiiPfEEvT0_S3_T2_lS3_lPS3_llPT1_S3_S3_S5_l
                                        ; -- End function
	.section	.AMDGPU.csdata,"",@progbits
; Kernel info:
; codeLenInByte = 2244
; NumSgprs: 42
; NumVgprs: 25
; ScratchSize: 0
; MemoryBound: 0
; FloatMode: 240
; IeeeMode: 1
; LDSByteSize: 8 bytes/workgroup (compile time only)
; SGPRBlocks: 5
; VGPRBlocks: 3
; NumSGPRsForWavesPerEU: 42
; NumVGPRsForWavesPerEU: 25
; Occupancy: 16
; WaveLimiterHint : 0
; COMPUTE_PGM_RSRC2:SCRATCH_EN: 0
; COMPUTE_PGM_RSRC2:USER_SGPR: 14
; COMPUTE_PGM_RSRC2:TRAP_HANDLER: 0
; COMPUTE_PGM_RSRC2:TGID_X_EN: 1
; COMPUTE_PGM_RSRC2:TGID_Y_EN: 0
; COMPUTE_PGM_RSRC2:TGID_Z_EN: 1
; COMPUTE_PGM_RSRC2:TIDIG_COMP_CNT: 1
	.section	.text._ZN9rocsolver6v33100L23getf2_npvt_panel_kernelIfiiPfEEvT0_S3_T2_lS3_lPT1_S3_S3_,"axG",@progbits,_ZN9rocsolver6v33100L23getf2_npvt_panel_kernelIfiiPfEEvT0_S3_T2_lS3_lPT1_S3_S3_,comdat
	.globl	_ZN9rocsolver6v33100L23getf2_npvt_panel_kernelIfiiPfEEvT0_S3_T2_lS3_lPT1_S3_S3_ ; -- Begin function _ZN9rocsolver6v33100L23getf2_npvt_panel_kernelIfiiPfEEvT0_S3_T2_lS3_lPT1_S3_S3_
	.p2align	8
	.type	_ZN9rocsolver6v33100L23getf2_npvt_panel_kernelIfiiPfEEvT0_S3_T2_lS3_lPT1_S3_S3_,@function
_ZN9rocsolver6v33100L23getf2_npvt_panel_kernelIfiiPfEEvT0_S3_T2_lS3_lPT1_S3_S3_: ; @_ZN9rocsolver6v33100L23getf2_npvt_panel_kernelIfiiPfEEvT0_S3_T2_lS3_lPT1_S3_S3_
; %bb.0:
	s_mov_b32 s8, s15
	s_clause 0x3
	s_load_b128 s[4:7], s[0:1], 0x20
	s_load_b128 s[12:15], s[0:1], 0x8
	s_load_b64 s[10:11], s[0:1], 0x0
	s_load_b32 s3, s[0:1], 0x44
	s_ashr_i32 s9, s8, 31
	v_bfe_u32 v4, v0, 10, 10
	v_and_b32_e32 v0, 0x3ff, v0
	s_waitcnt lgkmcnt(0)
	s_mul_i32 s2, s8, s5
	s_mul_hi_u32 s5, s8, s4
	s_mul_i32 s16, s9, s4
	s_add_i32 s2, s5, s2
	s_mul_i32 s4, s8, s4
	s_add_i32 s5, s2, s16
	v_cmp_eq_u32_e64 s2, 0, v4
	s_lshl_b64 s[4:5], s[4:5], 2
	s_delay_alu instid0(SALU_CYCLE_1) | instskip(SKIP_2) | instid1(SALU_CYCLE_1)
	s_add_u32 s12, s12, s4
	s_addc_u32 s13, s13, s5
	s_lshl_b64 s[4:5], s[14:15], 2
	s_add_u32 s4, s12, s4
	s_addc_u32 s5, s13, s5
	s_and_saveexec_b32 s12, s2
	s_cbranch_execz .LBB1_4
; %bb.1:
	v_mov_b32_e32 v1, 0
	s_mov_b32 s13, exec_lo
	v_cmpx_gt_i32_e64 s10, v0
	s_cbranch_execz .LBB1_3
; %bb.2:
	v_lshlrev_b32_e32 v1, 2, v0
	global_load_b32 v1, v1, s[4:5]
.LBB1_3:
	s_or_b32 exec_lo, exec_lo, s13
	v_lshl_add_u32 v2, v0, 2, 0
	s_waitcnt vmcnt(0)
	ds_store_b32 v2, v1
.LBB1_4:
	s_or_b32 exec_lo, exec_lo, s12
	s_cmp_lt_i32 s11, 1
	s_cbranch_scc1 .LBB1_25
; %bb.5:
	s_load_b32 s12, s[0:1], 0x18
	s_and_b32 s16, s3, 0xffff
	v_dual_mov_b32 v10, 0 :: v_dual_lshlrev_b32 v1, 2, v0
	v_add_nc_u32_e32 v5, 2, v4
	s_lshr_b32 s13, s3, 16
	v_cmp_gt_i32_e64 s3, s10, v0
	s_lshl_b32 s10, s16, 2
	v_lshlrev_b32_e32 v3, 2, v4
	s_add_i32 s10, s10, 0
	v_add_nc_u32_e32 v6, 0, v1
	v_add_nc_u32_e32 v7, s10, v1
	v_cmp_gt_u32_e32 vcc_lo, s11, v0
	v_add3_u32 v9, s10, v3, 8
	s_mov_b32 s14, 0
	s_add_i32 s15, s11, -1
	s_add_i32 s17, s10, 4
	s_and_b32 s16, s2, vcc_lo
	s_lshl_b32 s19, s13, 2
	s_mov_b32 s10, 0
	s_waitcnt lgkmcnt(0)
	v_mul_lo_u32 v8, v0, s12
	v_mad_u64_u32 v[1:2], null, s12, v5, v[0:1]
	s_mul_i32 s18, s12, s13
	s_branch .LBB1_7
.LBB1_6:                                ;   in Loop: Header=BB1_7 Depth=1
	s_or_b32 exec_lo, exec_lo, s20
	v_add_nc_u32_e32 v1, s12, v1
	v_add_nc_u32_e32 v9, 4, v9
	s_add_i32 s14, s14, 1
	s_delay_alu instid0(SALU_CYCLE_1)
	s_cmp_eq_u32 s14, s11
	s_cbranch_scc1 .LBB1_26
.LBB1_7:                                ; =>This Loop Header: Depth=1
                                        ;     Child Loop BB1_15 Depth 2
	s_lshl_b32 s20, s14, 2
	s_delay_alu instid0(SALU_CYCLE_1)
	s_add_i32 s21, s20, 0
	s_waitcnt lgkmcnt(0)
	s_waitcnt_vscnt null, 0x0
	s_barrier
	v_mov_b32_e32 v2, s21
	buffer_gl0_inv
	s_cmp_eq_u32 s10, 0
                                        ; implicit-def: $vgpr11
	s_cselect_b32 s21, -1, 0
	ds_load_b32 v2, v2
	s_waitcnt lgkmcnt(0)
	v_cmp_eq_f32_e32 vcc_lo, 0, v2
	s_and_b32 s21, vcc_lo, s21
	s_delay_alu instid0(SALU_CYCLE_1)
	s_and_not1_b32 vcc_lo, exec_lo, s21
	s_mov_b32 s21, -1
	s_cbranch_vccnz .LBB1_20
; %bb.8:                                ;   in Loop: Header=BB1_7 Depth=1
	s_and_not1_b32 vcc_lo, exec_lo, s21
	s_cbranch_vccz .LBB1_21
.LBB1_9:                                ;   in Loop: Header=BB1_7 Depth=1
	s_mov_b32 s21, exec_lo
	v_cmpx_ne_u32_e64 s14, v0
	s_cbranch_execnz .LBB1_22
.LBB1_10:                               ;   in Loop: Header=BB1_7 Depth=1
	s_or_b32 exec_lo, exec_lo, s21
	s_and_saveexec_b32 s21, s16
	s_cbranch_execz .LBB1_12
.LBB1_11:                               ;   in Loop: Header=BB1_7 Depth=1
	v_add_nc_u32_e32 v2, s14, v8
	s_delay_alu instid0(VALU_DEP_1) | instskip(NEXT) | instid1(VALU_DEP_1)
	v_ashrrev_i32_e32 v3, 31, v2
	v_lshlrev_b64 v[2:3], 2, v[2:3]
	s_delay_alu instid0(VALU_DEP_1) | instskip(NEXT) | instid1(VALU_DEP_2)
	v_add_co_u32 v2, vcc_lo, s4, v2
	v_add_co_ci_u32_e32 v3, vcc_lo, s5, v3, vcc_lo
	global_load_b32 v2, v[2:3], off
	s_waitcnt vmcnt(0)
	ds_store_b32 v7, v2
.LBB1_12:                               ;   in Loop: Header=BB1_7 Depth=1
	s_or_b32 exec_lo, exec_lo, s21
	v_cmp_lt_u32_e32 vcc_lo, s14, v0
	s_waitcnt lgkmcnt(0)
	s_waitcnt_vscnt null, 0x0
	s_barrier
	buffer_gl0_inv
	s_and_b32 s22, s3, vcc_lo
	s_delay_alu instid0(SALU_CYCLE_1)
	s_and_saveexec_b32 s21, s22
	s_cbranch_execz .LBB1_18
; %bb.13:                               ;   in Loop: Header=BB1_7 Depth=1
	v_add_nc_u32_e32 v12, s14, v5
	s_mov_b32 s22, exec_lo
	s_delay_alu instid0(VALU_DEP_1)
	v_cmpx_gt_i32_e64 s11, v12
	s_cbranch_execz .LBB1_16
; %bb.14:                               ;   in Loop: Header=BB1_7 Depth=1
	v_mov_b32_e32 v13, v9
	v_mov_b32_e32 v2, v1
	s_mov_b32 s23, 0
	.p2align	6
.LBB1_15:                               ;   Parent Loop BB1_7 Depth=1
                                        ; =>  This Inner Loop Header: Depth=2
	s_delay_alu instid0(VALU_DEP_1)
	v_ashrrev_i32_e32 v3, 31, v2
	ds_load_b32 v16, v13
	v_add_nc_u32_e32 v12, s13, v12
	v_add_nc_u32_e32 v13, s19, v13
	v_lshlrev_b64 v[14:15], 2, v[2:3]
	v_add_nc_u32_e32 v2, s18, v2
	s_delay_alu instid0(VALU_DEP_2) | instskip(NEXT) | instid1(VALU_DEP_3)
	v_add_co_u32 v14, vcc_lo, s4, v14
	v_add_co_ci_u32_e32 v15, vcc_lo, s5, v15, vcc_lo
	v_cmp_le_i32_e32 vcc_lo, s11, v12
	global_load_b32 v3, v[14:15], off
	s_or_b32 s23, vcc_lo, s23
	s_waitcnt vmcnt(0) lgkmcnt(0)
	v_fma_f32 v3, -v11, v16, v3
	global_store_b32 v[14:15], v3, off
	s_and_not1_b32 exec_lo, exec_lo, s23
	s_cbranch_execnz .LBB1_15
.LBB1_16:                               ;   in Loop: Header=BB1_7 Depth=1
	s_or_b32 exec_lo, exec_lo, s22
	s_cmp_lt_i32 s14, s15
	s_cselect_b32 s22, -1, 0
	s_delay_alu instid0(SALU_CYCLE_1) | instskip(NEXT) | instid1(SALU_CYCLE_1)
	s_and_b32 s22, s2, s22
	s_and_b32 exec_lo, exec_lo, s22
	s_cbranch_execz .LBB1_18
; %bb.17:                               ;   in Loop: Header=BB1_7 Depth=1
	s_add_i32 s22, s14, 1
	s_add_i32 s20, s17, s20
	v_mad_u64_u32 v[2:3], null, s22, s12, v[0:1]
	v_mov_b32_e32 v13, s20
	ds_load_b32 v13, v13
	v_ashrrev_i32_e32 v3, 31, v2
	s_delay_alu instid0(VALU_DEP_1) | instskip(NEXT) | instid1(VALU_DEP_1)
	v_lshlrev_b64 v[2:3], 2, v[2:3]
	v_add_co_u32 v2, vcc_lo, s4, v2
	s_delay_alu instid0(VALU_DEP_2)
	v_add_co_ci_u32_e32 v3, vcc_lo, s5, v3, vcc_lo
	global_load_b32 v12, v[2:3], off
	s_waitcnt vmcnt(0) lgkmcnt(0)
	v_fma_f32 v11, -v11, v13, v12
	global_store_b32 v[2:3], v11, off
	ds_store_b32 v6, v11
.LBB1_18:                               ;   in Loop: Header=BB1_7 Depth=1
	s_or_b32 exec_lo, exec_lo, s21
	v_cmp_ge_u32_e32 vcc_lo, s14, v0
	s_and_b32 s21, s2, vcc_lo
	s_delay_alu instid0(SALU_CYCLE_1)
	s_and_saveexec_b32 s20, s21
	s_cbranch_execz .LBB1_6
; %bb.19:                               ;   in Loop: Header=BB1_7 Depth=1
	ds_store_b32 v6, v10
	s_branch .LBB1_6
.LBB1_20:                               ;   in Loop: Header=BB1_7 Depth=1
	v_div_scale_f32 v3, null, v2, v2, 1.0
	s_delay_alu instid0(VALU_DEP_1) | instskip(SKIP_2) | instid1(VALU_DEP_1)
	v_rcp_f32_e32 v11, v3
	s_waitcnt_depctr 0xfff
	v_fma_f32 v12, -v3, v11, 1.0
	v_fmac_f32_e32 v11, v12, v11
	v_div_scale_f32 v12, vcc_lo, 1.0, v2, 1.0
	s_delay_alu instid0(VALU_DEP_1) | instskip(NEXT) | instid1(VALU_DEP_1)
	v_mul_f32_e32 v13, v12, v11
	v_fma_f32 v14, -v3, v13, v12
	s_delay_alu instid0(VALU_DEP_1) | instskip(NEXT) | instid1(VALU_DEP_1)
	v_fmac_f32_e32 v13, v14, v11
	v_fma_f32 v3, -v3, v13, v12
	s_delay_alu instid0(VALU_DEP_1) | instskip(NEXT) | instid1(VALU_DEP_1)
	v_div_fmas_f32 v3, v3, v11, v13
	v_div_fixup_f32 v11, v3, v2, 1.0
	s_cbranch_execnz .LBB1_9
.LBB1_21:                               ;   in Loop: Header=BB1_7 Depth=1
	v_mov_b32_e32 v11, v2
	s_add_i32 s10, s14, 1
	s_mov_b32 s21, exec_lo
	v_cmpx_ne_u32_e64 s14, v0
	s_cbranch_execz .LBB1_10
.LBB1_22:                               ;   in Loop: Header=BB1_7 Depth=1
	ds_load_b32 v2, v6
	v_cmp_le_u32_e32 vcc_lo, s14, v0
	s_and_b32 s22, s3, vcc_lo
	s_delay_alu instid0(SALU_CYCLE_1)
	s_and_b32 s23, s2, s22
	s_waitcnt lgkmcnt(0)
	v_mul_f32_e32 v11, v11, v2
	s_and_saveexec_b32 s22, s23
	s_cbranch_execz .LBB1_24
; %bb.23:                               ;   in Loop: Header=BB1_7 Depth=1
	v_mad_u64_u32 v[2:3], null, s14, s12, v[0:1]
	s_delay_alu instid0(VALU_DEP_1) | instskip(NEXT) | instid1(VALU_DEP_1)
	v_ashrrev_i32_e32 v3, 31, v2
	v_lshlrev_b64 v[2:3], 2, v[2:3]
	s_delay_alu instid0(VALU_DEP_1) | instskip(NEXT) | instid1(VALU_DEP_2)
	v_add_co_u32 v2, vcc_lo, s4, v2
	v_add_co_ci_u32_e32 v3, vcc_lo, s5, v3, vcc_lo
	global_store_b32 v[2:3], v11, off
.LBB1_24:                               ;   in Loop: Header=BB1_7 Depth=1
	s_or_b32 exec_lo, exec_lo, s22
	s_delay_alu instid0(SALU_CYCLE_1)
	s_or_b32 exec_lo, exec_lo, s21
	s_and_saveexec_b32 s21, s16
	s_cbranch_execnz .LBB1_11
	s_branch .LBB1_12
.LBB1_25:
	s_mov_b32 s10, 0
.LBB1_26:
	s_mov_b32 s2, exec_lo
	v_cmpx_eq_u32_e32 0, v0
	s_cbranch_execz .LBB1_29
; %bb.27:
	s_lshl_b64 s[2:3], s[8:9], 2
	v_mov_b32_e32 v0, 0
	s_add_u32 s2, s6, s2
	s_addc_u32 s3, s7, s3
	s_cmp_gt_i32 s10, 0
	global_load_b32 v1, v0, s[2:3]
	s_cselect_b32 s4, -1, 0
	s_waitcnt vmcnt(0)
	v_or_b32_e32 v1, v1, v4
	s_delay_alu instid0(VALU_DEP_1) | instskip(SKIP_1) | instid1(SALU_CYCLE_1)
	v_cmp_eq_u32_e32 vcc_lo, 0, v1
	s_and_b32 s4, vcc_lo, s4
	s_and_b32 exec_lo, exec_lo, s4
	s_cbranch_execz .LBB1_29
; %bb.28:
	s_load_b32 s0, s[0:1], 0x34
	s_waitcnt lgkmcnt(0)
	s_add_i32 s0, s10, s0
	s_delay_alu instid0(SALU_CYCLE_1)
	v_mov_b32_e32 v1, s0
	global_store_b32 v0, v1, s[2:3]
.LBB1_29:
	s_nop 0
	s_sendmsg sendmsg(MSG_DEALLOC_VGPRS)
	s_endpgm
	.section	.rodata,"a",@progbits
	.p2align	6, 0x0
	.amdhsa_kernel _ZN9rocsolver6v33100L23getf2_npvt_panel_kernelIfiiPfEEvT0_S3_T2_lS3_lPT1_S3_S3_
		.amdhsa_group_segment_fixed_size 0
		.amdhsa_private_segment_fixed_size 0
		.amdhsa_kernarg_size 312
		.amdhsa_user_sgpr_count 14
		.amdhsa_user_sgpr_dispatch_ptr 0
		.amdhsa_user_sgpr_queue_ptr 0
		.amdhsa_user_sgpr_kernarg_segment_ptr 1
		.amdhsa_user_sgpr_dispatch_id 0
		.amdhsa_user_sgpr_private_segment_size 0
		.amdhsa_wavefront_size32 1
		.amdhsa_uses_dynamic_stack 0
		.amdhsa_enable_private_segment 0
		.amdhsa_system_sgpr_workgroup_id_x 1
		.amdhsa_system_sgpr_workgroup_id_y 0
		.amdhsa_system_sgpr_workgroup_id_z 1
		.amdhsa_system_sgpr_workgroup_info 0
		.amdhsa_system_vgpr_workitem_id 1
		.amdhsa_next_free_vgpr 17
		.amdhsa_next_free_sgpr 24
		.amdhsa_reserve_vcc 1
		.amdhsa_float_round_mode_32 0
		.amdhsa_float_round_mode_16_64 0
		.amdhsa_float_denorm_mode_32 3
		.amdhsa_float_denorm_mode_16_64 3
		.amdhsa_dx10_clamp 1
		.amdhsa_ieee_mode 1
		.amdhsa_fp16_overflow 0
		.amdhsa_workgroup_processor_mode 1
		.amdhsa_memory_ordered 1
		.amdhsa_forward_progress 0
		.amdhsa_shared_vgpr_count 0
		.amdhsa_exception_fp_ieee_invalid_op 0
		.amdhsa_exception_fp_denorm_src 0
		.amdhsa_exception_fp_ieee_div_zero 0
		.amdhsa_exception_fp_ieee_overflow 0
		.amdhsa_exception_fp_ieee_underflow 0
		.amdhsa_exception_fp_ieee_inexact 0
		.amdhsa_exception_int_div_zero 0
	.end_amdhsa_kernel
	.section	.text._ZN9rocsolver6v33100L23getf2_npvt_panel_kernelIfiiPfEEvT0_S3_T2_lS3_lPT1_S3_S3_,"axG",@progbits,_ZN9rocsolver6v33100L23getf2_npvt_panel_kernelIfiiPfEEvT0_S3_T2_lS3_lPT1_S3_S3_,comdat
.Lfunc_end1:
	.size	_ZN9rocsolver6v33100L23getf2_npvt_panel_kernelIfiiPfEEvT0_S3_T2_lS3_lPT1_S3_S3_, .Lfunc_end1-_ZN9rocsolver6v33100L23getf2_npvt_panel_kernelIfiiPfEEvT0_S3_T2_lS3_lPT1_S3_S3_
                                        ; -- End function
	.section	.AMDGPU.csdata,"",@progbits
; Kernel info:
; codeLenInByte = 1212
; NumSgprs: 26
; NumVgprs: 17
; ScratchSize: 0
; MemoryBound: 0
; FloatMode: 240
; IeeeMode: 1
; LDSByteSize: 0 bytes/workgroup (compile time only)
; SGPRBlocks: 3
; VGPRBlocks: 2
; NumSGPRsForWavesPerEU: 26
; NumVGPRsForWavesPerEU: 17
; Occupancy: 16
; WaveLimiterHint : 0
; COMPUTE_PGM_RSRC2:SCRATCH_EN: 0
; COMPUTE_PGM_RSRC2:USER_SGPR: 14
; COMPUTE_PGM_RSRC2:TRAP_HANDLER: 0
; COMPUTE_PGM_RSRC2:TGID_X_EN: 1
; COMPUTE_PGM_RSRC2:TGID_Y_EN: 0
; COMPUTE_PGM_RSRC2:TGID_Z_EN: 1
; COMPUTE_PGM_RSRC2:TIDIG_COMP_CNT: 1
	.section	.text._ZN9rocsolver6v33100L18getf2_panel_kernelIfiiPKPfEEvT0_S5_T2_lS5_lPS5_llPT1_S5_S5_S7_l,"axG",@progbits,_ZN9rocsolver6v33100L18getf2_panel_kernelIfiiPKPfEEvT0_S5_T2_lS5_lPS5_llPT1_S5_S5_S7_l,comdat
	.globl	_ZN9rocsolver6v33100L18getf2_panel_kernelIfiiPKPfEEvT0_S5_T2_lS5_lPS5_llPT1_S5_S5_S7_l ; -- Begin function _ZN9rocsolver6v33100L18getf2_panel_kernelIfiiPKPfEEvT0_S5_T2_lS5_lPS5_llPT1_S5_S5_S7_l
	.p2align	8
	.type	_ZN9rocsolver6v33100L18getf2_panel_kernelIfiiPKPfEEvT0_S5_T2_lS5_lPS5_llPT1_S5_S5_S7_l,@function
_ZN9rocsolver6v33100L18getf2_panel_kernelIfiiPKPfEEvT0_S5_T2_lS5_lPS5_llPT1_S5_S5_S7_l: ; @_ZN9rocsolver6v33100L18getf2_panel_kernelIfiiPKPfEEvT0_S5_T2_lS5_lPS5_llPT1_S5_S5_S7_l
; %bb.0:
	s_clause 0x1
	s_load_b128 s[4:7], s[0:1], 0x8
	s_load_b128 s[8:11], s[0:1], 0x50
	s_mov_b32 s12, s15
	s_ashr_i32 s13, s15, 31
	s_mov_b64 s[14:15], 0
	s_lshl_b64 s[2:3], s[12:13], 3
	s_waitcnt lgkmcnt(0)
	s_add_u32 s2, s4, s2
	s_addc_u32 s3, s5, s3
	s_load_b32 s21, s[0:1], 0x6c
	s_load_b64 s[2:3], s[2:3], 0x0
	s_cmp_eq_u64 s[8:9], 0
	s_cselect_b32 s22, -1, 0
	s_delay_alu instid0(SALU_CYCLE_1)
	s_and_b32 vcc_lo, exec_lo, s22
	s_cbranch_vccnz .LBB2_2
; %bb.1:
	s_mul_i32 s4, s12, s11
	s_mul_hi_u32 s5, s12, s10
	s_mul_i32 s11, s13, s10
	s_add_i32 s4, s5, s4
	s_delay_alu instid0(SALU_CYCLE_1) | instskip(SKIP_1) | instid1(SALU_CYCLE_1)
	s_add_i32 s5, s4, s11
	s_mul_i32 s4, s12, s10
	s_lshl_b64 s[4:5], s[4:5], 2
	s_delay_alu instid0(SALU_CYCLE_1)
	s_add_u32 s14, s8, s4
	s_addc_u32 s15, s9, s5
.LBB2_2:
	s_load_b64 s[16:17], s[0:1], 0x0
	s_lshl_b64 s[4:5], s[6:7], 2
	v_bfe_u32 v6, v0, 10, 10
	s_waitcnt lgkmcnt(0)
	s_and_b32 s30, s21, 0xffff
	s_add_u32 s18, s2, s4
	s_addc_u32 s19, s3, s5
	s_lshl_b32 s3, s30, 2
	v_and_b32_e32 v0, 0x3ff, v0
	s_add_i32 s20, s3, 8
	v_cmp_eq_u32_e64 s2, 0, v6
                                        ; implicit-def: $vgpr7
	s_lshl_b32 s4, s17, 2
	s_delay_alu instid0(SALU_CYCLE_1) | instskip(NEXT) | instid1(SALU_CYCLE_1)
	s_add_i32 s23, s20, s4
	s_add_i32 s37, s23, s3
	s_delay_alu instid0(VALU_DEP_1)
	s_and_saveexec_b32 s3, s2
	s_cbranch_execz .LBB2_6
; %bb.3:
	v_mov_b32_e32 v1, 0
	s_mov_b32 s4, exec_lo
	v_cmpx_gt_i32_e64 s16, v0
	s_cbranch_execz .LBB2_5
; %bb.4:
	v_lshlrev_b32_e32 v1, 2, v0
	global_load_b32 v1, v1, s[18:19]
.LBB2_5:
	s_or_b32 exec_lo, exec_lo, s4
	v_lshlrev_b32_e32 v2, 2, v0
	s_waitcnt vmcnt(0)
	v_and_b32_e32 v7, 0x7fffffff, v1
	s_delay_alu instid0(VALU_DEP_2)
	v_add_nc_u32_e32 v3, 8, v2
	v_add_nc_u32_e32 v4, s23, v2
	;; [unrolled: 1-line block ×3, first 2 shown]
	ds_store_b32 v3, v1
	ds_store_b32 v4, v7
	;; [unrolled: 1-line block ×3, first 2 shown]
.LBB2_6:
	s_or_b32 exec_lo, exec_lo, s3
	s_clause 0x1
	s_load_b256 s[4:11], s[0:1], 0x28
	s_load_b32 s24, s[0:1], 0x4c
	s_cmp_lt_i32 s17, 1
	s_cbranch_scc1 .LBB2_48
; %bb.7:
	s_waitcnt lgkmcnt(0)
	s_mul_i32 s3, s12, s9
	s_mul_hi_u32 s9, s12, s8
	s_mul_i32 s25, s13, s8
	s_add_i32 s3, s9, s3
	s_mul_i32 s8, s12, s8
	s_add_i32 s9, s3, s25
	s_load_b32 s25, s[0:1], 0x18
	s_lshl_b64 s[0:1], s[8:9], 2
	s_lshr_b32 s26, s21, 16
	v_dual_mov_b32 v14, 0 :: v_dual_lshlrev_b32 v1, 2, v0
	s_add_u32 s3, s4, s0
	s_addc_u32 s4, s5, s1
	s_lshl_b64 s[0:1], s[6:7], 2
	s_delay_alu instid0(VALU_DEP_1)
	v_add_nc_u32_e32 v8, s23, v1
	s_add_u32 s27, s3, s0
	s_addc_u32 s28, s4, s1
	v_dual_mov_b32 v16, s37 :: v_dual_add_nc_u32 v9, s37, v1
	v_add_nc_u32_e32 v10, 8, v1
	v_add_nc_u32_e32 v12, s20, v1
	;; [unrolled: 1-line block ×3, first 2 shown]
	v_add_co_u32 v1, s4, s14, v1
	v_or_b32_e32 v2, v0, v6
	v_lshlrev_b32_e32 v5, 2, v6
	s_waitcnt lgkmcnt(0)
	v_mul_lo_u32 v11, v0, s25
	v_mad_u64_u32 v[3:4], null, s25, v13, v[0:1]
	v_cmp_gt_u32_e32 vcc_lo, s17, v0
	s_lshr_b32 s29, s30, 1
	v_cmp_eq_u32_e64 s0, 0, v2
	v_cmp_gt_i32_e64 s1, s16, v0
	v_cmp_le_i32_e64 s3, s16, v0
	v_add_co_ci_u32_e64 v2, null, s15, 0, s4
	v_add3_u32 v15, s20, v5, 8
	s_cmp_gt_u32 s30, 1
	s_mov_b32 s7, 0
	s_mov_b64 s[8:9], src_shared_base
	s_cselect_b32 s30, -1, 0
	s_add_i32 s31, s24, 1
	s_and_b32 s33, s2, vcc_lo
	s_add_i32 s16, s17, -1
	s_add_i32 s34, s20, 4
	s_mul_i32 s35, s25, s26
	s_lshl_b32 s36, s26, 2
	s_mov_b32 s6, s7
	s_mov_b32 s8, s7
	s_branch .LBB2_9
.LBB2_8:                                ;   in Loop: Header=BB2_9 Depth=1
	s_or_b32 exec_lo, exec_lo, s4
	v_add_nc_u32_e32 v3, s25, v3
	v_add_nc_u32_e32 v15, 4, v15
	s_add_i32 s6, s6, 1
	s_delay_alu instid0(SALU_CYCLE_1)
	s_cmp_eq_u32 s6, s17
	s_cbranch_scc1 .LBB2_49
.LBB2_9:                                ; =>This Loop Header: Depth=1
                                        ;     Child Loop BB2_16 Depth 2
                                        ;     Child Loop BB2_41 Depth 2
	v_mov_b32_e32 v4, v0
	s_and_not1_b32 vcc_lo, exec_lo, s30
	s_mov_b32 s5, s29
	s_waitcnt lgkmcnt(0)
	s_waitcnt_vscnt null, 0x0
	s_barrier
	buffer_gl0_inv
	s_cbranch_vccnz .LBB2_18
	.p2align	6
; %bb.10:                               ;   in Loop: Header=BB2_9 Depth=1
	v_cmp_gt_u32_e32 vcc_lo, s5, v0
	s_and_b32 s4, s2, vcc_lo
	s_delay_alu instid0(SALU_CYCLE_1)
	s_and_saveexec_b32 s20, s4
	s_cbranch_execz .LBB2_16
.LBB2_11:                               ;   in Loop: Header=BB2_9 Depth=1
	s_lshl_b32 s4, s5, 2
	s_mov_b32 s37, exec_lo
	v_add_nc_u32_e32 v5, s4, v8
	v_add_nc_u32_e32 v17, s4, v9
	ds_load_b32 v5, v5
	ds_load_b32 v17, v17
	s_waitcnt lgkmcnt(1)
	v_cmp_lt_f32_e64 s21, v7, v5
	v_cmpx_nlt_f32_e32 v7, v5
	s_cbranch_execz .LBB2_13
; %bb.12:                               ;   in Loop: Header=BB2_9 Depth=1
	v_cmp_eq_f32_e32 vcc_lo, v7, v5
	s_waitcnt lgkmcnt(0)
	v_cmp_gt_i32_e64 s4, v4, v17
	s_and_not1_b32 s21, s21, exec_lo
	s_delay_alu instid0(VALU_DEP_1) | instskip(NEXT) | instid1(SALU_CYCLE_1)
	s_and_b32 s4, vcc_lo, s4
	s_and_b32 s4, s4, exec_lo
	s_delay_alu instid0(SALU_CYCLE_1)
	s_or_b32 s21, s21, s4
.LBB2_13:                               ;   in Loop: Header=BB2_9 Depth=1
	s_or_b32 exec_lo, exec_lo, s37
	s_delay_alu instid0(VALU_DEP_2)
	s_and_saveexec_b32 s4, s21
	s_cbranch_execz .LBB2_15
; %bb.14:                               ;   in Loop: Header=BB2_9 Depth=1
	v_mov_b32_e32 v7, v5
	s_waitcnt lgkmcnt(0)
	v_mov_b32_e32 v4, v17
	ds_store_b32 v8, v5
	ds_store_b32 v9, v17
.LBB2_15:                               ;   in Loop: Header=BB2_9 Depth=1
	s_or_b32 exec_lo, exec_lo, s4
.LBB2_16:                               ;   Parent Loop BB2_9 Depth=1
                                        ; =>  This Inner Loop Header: Depth=2
	s_delay_alu instid0(SALU_CYCLE_1)
	s_or_b32 exec_lo, exec_lo, s20
	s_lshr_b32 s4, s5, 1
	s_cmp_lt_u32 s5, 2
	s_waitcnt lgkmcnt(0)
	s_barrier
	buffer_gl0_inv
	s_cbranch_scc1 .LBB2_18
; %bb.17:                               ;   in Loop: Header=BB2_16 Depth=2
	s_mov_b32 s5, s4
	s_delay_alu instid0(SALU_CYCLE_1) | instskip(SKIP_1) | instid1(SALU_CYCLE_1)
	v_cmp_gt_u32_e32 vcc_lo, s5, v0
	s_and_b32 s4, s2, vcc_lo
	s_and_saveexec_b32 s20, s4
	s_cbranch_execnz .LBB2_11
	s_branch .LBB2_16
.LBB2_18:                               ;   in Loop: Header=BB2_9 Depth=1
	ds_load_b32 v5, v16
	s_waitcnt lgkmcnt(0)
	v_lshlrev_b32_e32 v4, 2, v5
	v_readfirstlane_b32 s20, v5
	s_delay_alu instid0(VALU_DEP_2)
	v_add_nc_u32_e32 v4, 8, v4
	ds_load_b32 v4, v4
	s_waitcnt lgkmcnt(0)
	v_cmp_neq_f32_e32 vcc_lo, 0, v4
	s_cbranch_vccz .LBB2_47
; %bb.19:                               ;   in Loop: Header=BB2_9 Depth=1
	v_div_scale_f32 v5, null, v4, v4, 1.0
	s_delay_alu instid0(VALU_DEP_1) | instskip(SKIP_2) | instid1(VALU_DEP_1)
	v_rcp_f32_e32 v17, v5
	s_waitcnt_depctr 0xfff
	v_fma_f32 v18, -v5, v17, 1.0
	v_fmac_f32_e32 v17, v18, v17
	v_div_scale_f32 v18, vcc_lo, 1.0, v4, 1.0
	s_delay_alu instid0(VALU_DEP_1) | instskip(NEXT) | instid1(VALU_DEP_1)
	v_mul_f32_e32 v19, v18, v17
	v_fma_f32 v20, -v5, v19, v18
	s_delay_alu instid0(VALU_DEP_1) | instskip(NEXT) | instid1(VALU_DEP_1)
	v_fmac_f32_e32 v19, v20, v17
	v_fma_f32 v5, -v5, v19, v18
	s_delay_alu instid0(VALU_DEP_1) | instskip(NEXT) | instid1(VALU_DEP_1)
	v_div_fmas_f32 v5, v5, v17, v19
	v_div_fixup_f32 v17, v5, v4, 1.0
	s_cbranch_execnz .LBB2_21
.LBB2_20:                               ;   in Loop: Header=BB2_9 Depth=1
	s_add_i32 s4, s6, 1
	v_mov_b32_e32 v17, v4
	s_cmp_eq_u32 s8, 0
	s_mov_b32 s20, s6
	s_cselect_b32 s8, s4, s8
.LBB2_21:                               ;   in Loop: Header=BB2_9 Depth=1
	s_and_saveexec_b32 s4, s0
	s_cbranch_execz .LBB2_23
; %bb.22:                               ;   in Loop: Header=BB2_9 Depth=1
	s_lshl_b64 s[38:39], s[6:7], 2
	s_delay_alu instid0(SALU_CYCLE_1) | instskip(SKIP_2) | instid1(SALU_CYCLE_1)
	s_add_u32 s38, s27, s38
	s_addc_u32 s39, s28, s39
	s_add_i32 s5, s31, s20
	v_mov_b32_e32 v4, s5
	global_store_b32 v14, v4, s[38:39]
.LBB2_23:                               ;   in Loop: Header=BB2_9 Depth=1
	s_or_b32 exec_lo, exec_lo, s4
	v_cmp_eq_u32_e32 vcc_lo, s20, v0
	s_mov_b32 s5, exec_lo
	v_cmpx_ne_u32_e64 s20, v0
	s_cbranch_execz .LBB2_27
; %bb.24:                               ;   in Loop: Header=BB2_9 Depth=1
	ds_load_b32 v4, v10
	v_cmp_le_u32_e64 s4, s6, v0
	s_delay_alu instid0(VALU_DEP_1) | instskip(NEXT) | instid1(SALU_CYCLE_1)
	s_and_b32 s4, s1, s4
	s_and_b32 s4, s2, s4
	s_waitcnt lgkmcnt(0)
	v_mul_f32_e32 v17, v17, v4
	s_and_saveexec_b32 s21, s4
	s_cbranch_execz .LBB2_26
; %bb.25:                               ;   in Loop: Header=BB2_9 Depth=1
	v_mad_u64_u32 v[4:5], null, s6, s25, v[0:1]
	s_delay_alu instid0(VALU_DEP_1) | instskip(NEXT) | instid1(VALU_DEP_1)
	v_ashrrev_i32_e32 v5, 31, v4
	v_lshlrev_b64 v[4:5], 2, v[4:5]
	s_delay_alu instid0(VALU_DEP_1) | instskip(NEXT) | instid1(VALU_DEP_1)
	v_add_co_u32 v4, s4, s18, v4
	v_add_co_ci_u32_e64 v5, s4, s19, v5, s4
	global_store_b32 v[4:5], v17, off
.LBB2_26:                               ;   in Loop: Header=BB2_9 Depth=1
	s_or_b32 exec_lo, exec_lo, s21
.LBB2_27:                               ;   in Loop: Header=BB2_9 Depth=1
	s_delay_alu instid0(SALU_CYCLE_1) | instskip(SKIP_1) | instid1(VALU_DEP_1)
	s_or_b32 exec_lo, exec_lo, s5
	v_add_nc_u32_e32 v4, s20, v11
	v_ashrrev_i32_e32 v5, 31, v4
	s_and_saveexec_b32 s5, s33
	s_cbranch_execz .LBB2_30
; %bb.28:                               ;   in Loop: Header=BB2_9 Depth=1
	s_delay_alu instid0(VALU_DEP_1) | instskip(NEXT) | instid1(VALU_DEP_1)
	v_lshlrev_b64 v[18:19], 2, v[4:5]
	v_add_co_u32 v18, s4, s18, v18
	s_delay_alu instid0(VALU_DEP_1)
	v_add_co_ci_u32_e64 v19, s4, s19, v19, s4
	v_cmp_eq_u32_e64 s4, s6, v0
	global_load_b32 v18, v[18:19], off
	s_waitcnt vmcnt(0)
	ds_store_b32 v12, v18
	s_and_b32 exec_lo, exec_lo, s4
	s_cbranch_execz .LBB2_30
; %bb.29:                               ;   in Loop: Header=BB2_9 Depth=1
	ds_store_b32 v14, v17
.LBB2_30:                               ;   in Loop: Header=BB2_9 Depth=1
	s_or_b32 exec_lo, exec_lo, s5
	s_cmp_lg_u32 s20, s6
	s_waitcnt lgkmcnt(0)
	s_waitcnt_vscnt null, 0x0
	s_cselect_b32 s4, -1, 0
	s_barrier
	s_and_b32 s4, s33, s4
	buffer_gl0_inv
	s_and_saveexec_b32 s37, s4
	s_cbranch_execz .LBB2_36
; %bb.31:                               ;   in Loop: Header=BB2_9 Depth=1
	v_add_nc_u32_e32 v18, s6, v11
	v_cmp_lt_u32_e64 s5, s6, v0
	v_lshlrev_b64 v[4:5], 2, v[4:5]
	s_add_i32 s21, s6, 1
	s_delay_alu instid0(VALU_DEP_3) | instskip(NEXT) | instid1(VALU_DEP_1)
	v_ashrrev_i32_e32 v19, 31, v18
	v_lshlrev_b64 v[18:19], 2, v[18:19]
	s_delay_alu instid0(VALU_DEP_1) | instskip(NEXT) | instid1(VALU_DEP_1)
	v_add_co_u32 v18, s4, s18, v18
	v_add_co_ci_u32_e64 v19, s4, s19, v19, s4
	v_cmp_ne_u32_e64 s4, s6, v0
	s_delay_alu instid0(VALU_DEP_1) | instskip(NEXT) | instid1(VALU_DEP_4)
	v_cndmask_b32_e64 v21, s9, v19, s4
	v_cndmask_b32_e64 v20, 0, v18, s4
	flat_load_b32 v22, v[20:21]
	ds_load_b32 v23, v12
	ds_load_b32 v20, v14
	s_waitcnt lgkmcnt(0)
	v_mul_f32_e32 v20, v20, v23
	s_delay_alu instid0(VALU_DEP_1) | instskip(SKIP_1) | instid1(VALU_DEP_1)
	v_cndmask_b32_e64 v24, 0, v20, s5
	v_add_co_u32 v20, s5, s18, v4
	v_add_co_ci_u32_e64 v21, s5, s19, v5, s5
	v_cmp_eq_u32_e64 s5, s21, v0
	s_waitcnt vmcnt(0)
	v_sub_f32_e32 v4, v22, v24
	s_clause 0x1
	global_store_b32 v[20:21], v4, off
	global_store_b32 v[18:19], v23, off
	s_and_saveexec_b32 s21, s5
	s_cbranch_execz .LBB2_33
; %bb.32:                               ;   in Loop: Header=BB2_9 Depth=1
	s_lshl_b32 s5, s20, 2
	s_delay_alu instid0(SALU_CYCLE_1) | instskip(SKIP_1) | instid1(SALU_CYCLE_1)
	s_add_i32 s38, s5, 8
	s_add_i32 s5, s23, s5
	v_dual_mov_b32 v18, s5 :: v_dual_and_b32 v7, 0x7fffffff, v4
	v_mov_b32_e32 v5, s38
	ds_store_b32 v5, v4
	ds_store_b32 v18, v7
.LBB2_33:                               ;   in Loop: Header=BB2_9 Depth=1
	s_or_b32 exec_lo, exec_lo, s21
	s_or_b32 s4, s22, s4
	s_delay_alu instid0(SALU_CYCLE_1) | instskip(NEXT) | instid1(SALU_CYCLE_1)
	s_xor_b32 s5, s4, -1
	s_and_saveexec_b32 s4, s5
	s_cbranch_execz .LBB2_35
; %bb.34:                               ;   in Loop: Header=BB2_9 Depth=1
	s_ashr_i32 s21, s20, 31
	s_delay_alu instid0(SALU_CYCLE_1) | instskip(NEXT) | instid1(SALU_CYCLE_1)
	s_lshl_b64 s[20:21], s[20:21], 2
	s_add_u32 s20, s14, s20
	s_addc_u32 s21, s15, s21
	s_delay_alu instid0(SALU_CYCLE_1)
	v_dual_mov_b32 v4, s20 :: v_dual_mov_b32 v5, s21
	s_clause 0x1
	flat_load_b32 v18, v[4:5]
	flat_load_b32 v19, v[1:2]
	s_waitcnt vmcnt(1) lgkmcnt(1)
	flat_store_b32 v[1:2], v18
	s_waitcnt vmcnt(0) lgkmcnt(1)
	flat_store_b32 v[4:5], v19
.LBB2_35:                               ;   in Loop: Header=BB2_9 Depth=1
	s_or_b32 exec_lo, exec_lo, s4
.LBB2_36:                               ;   in Loop: Header=BB2_9 Depth=1
	s_delay_alu instid0(SALU_CYCLE_1) | instskip(SKIP_1) | instid1(VALU_DEP_1)
	s_or_b32 exec_lo, exec_lo, s37
	v_cmp_ge_u32_e64 s4, s6, v0
	s_or_b32 s5, s3, s4
	s_delay_alu instid0(SALU_CYCLE_1) | instskip(NEXT) | instid1(SALU_CYCLE_1)
	s_or_b32 s5, s5, vcc_lo
	s_xor_b32 s20, s5, -1
	s_delay_alu instid0(SALU_CYCLE_1)
	s_and_saveexec_b32 s5, s20
	s_cbranch_execnz .LBB2_39
; %bb.37:                               ;   in Loop: Header=BB2_9 Depth=1
	s_or_b32 exec_lo, exec_lo, s5
	s_and_b32 s5, s2, s4
	s_delay_alu instid0(SALU_CYCLE_1)
	s_and_saveexec_b32 s4, s5
	s_cbranch_execnz .LBB2_45
.LBB2_38:                               ;   in Loop: Header=BB2_9 Depth=1
	s_or_b32 exec_lo, exec_lo, s4
	s_and_saveexec_b32 s4, s2
	s_cbranch_execz .LBB2_8
	s_branch .LBB2_46
.LBB2_39:                               ;   in Loop: Header=BB2_9 Depth=1
	v_add_nc_u32_e32 v18, s6, v13
	s_mov_b32 s20, exec_lo
	s_delay_alu instid0(VALU_DEP_1)
	v_cmpx_gt_i32_e64 s17, v18
	s_cbranch_execz .LBB2_42
; %bb.40:                               ;   in Loop: Header=BB2_9 Depth=1
	v_mov_b32_e32 v19, v15
	v_mov_b32_e32 v4, v3
	s_mov_b32 s21, 0
	.p2align	6
.LBB2_41:                               ;   Parent Loop BB2_9 Depth=1
                                        ; =>  This Inner Loop Header: Depth=2
	s_delay_alu instid0(VALU_DEP_1)
	v_ashrrev_i32_e32 v5, 31, v4
	ds_load_b32 v22, v19
	v_add_nc_u32_e32 v18, s26, v18
	v_add_nc_u32_e32 v19, s36, v19
	v_lshlrev_b64 v[20:21], 2, v[4:5]
	v_add_nc_u32_e32 v4, s35, v4
	s_delay_alu instid0(VALU_DEP_2) | instskip(NEXT) | instid1(VALU_DEP_3)
	v_add_co_u32 v20, vcc_lo, s18, v20
	v_add_co_ci_u32_e32 v21, vcc_lo, s19, v21, vcc_lo
	v_cmp_le_i32_e32 vcc_lo, s17, v18
	global_load_b32 v5, v[20:21], off
	s_or_b32 s21, vcc_lo, s21
	s_waitcnt vmcnt(0) lgkmcnt(0)
	v_fma_f32 v5, -v17, v22, v5
	global_store_b32 v[20:21], v5, off
	s_and_not1_b32 exec_lo, exec_lo, s21
	s_cbranch_execnz .LBB2_41
.LBB2_42:                               ;   in Loop: Header=BB2_9 Depth=1
	s_or_b32 exec_lo, exec_lo, s20
	s_cmp_lt_i32 s6, s16
	s_cselect_b32 s20, -1, 0
	s_delay_alu instid0(SALU_CYCLE_1) | instskip(NEXT) | instid1(SALU_CYCLE_1)
	s_and_b32 s21, s2, s20
	s_and_saveexec_b32 s20, s21
	s_cbranch_execz .LBB2_44
; %bb.43:                               ;   in Loop: Header=BB2_9 Depth=1
	s_add_i32 s21, s6, 1
	s_delay_alu instid0(SALU_CYCLE_1) | instskip(SKIP_1) | instid1(SALU_CYCLE_1)
	v_mad_u64_u32 v[4:5], null, s21, s25, v[0:1]
	s_lshl_b32 s21, s6, 2
	s_add_i32 s21, s34, s21
	s_delay_alu instid0(SALU_CYCLE_1) | instskip(NEXT) | instid1(VALU_DEP_2)
	v_mov_b32_e32 v18, s21
	v_ashrrev_i32_e32 v5, 31, v4
	ds_load_b32 v18, v18
	v_lshlrev_b64 v[4:5], 2, v[4:5]
	s_delay_alu instid0(VALU_DEP_1) | instskip(NEXT) | instid1(VALU_DEP_2)
	v_add_co_u32 v4, vcc_lo, s18, v4
	v_add_co_ci_u32_e32 v5, vcc_lo, s19, v5, vcc_lo
	global_load_b32 v7, v[4:5], off
	s_waitcnt vmcnt(0) lgkmcnt(0)
	v_fma_f32 v17, -v17, v18, v7
	s_delay_alu instid0(VALU_DEP_1)
	v_and_b32_e32 v7, 0x7fffffff, v17
	global_store_b32 v[4:5], v17, off
	ds_store_b32 v10, v17
	ds_store_b32 v8, v7
.LBB2_44:                               ;   in Loop: Header=BB2_9 Depth=1
	s_or_b32 exec_lo, exec_lo, s20
	s_delay_alu instid0(SALU_CYCLE_1) | instskip(SKIP_1) | instid1(SALU_CYCLE_1)
	s_or_b32 exec_lo, exec_lo, s5
	s_and_b32 s5, s2, s4
	s_and_saveexec_b32 s4, s5
	s_cbranch_execz .LBB2_38
.LBB2_45:                               ;   in Loop: Header=BB2_9 Depth=1
	v_mov_b32_e32 v7, 0
	ds_store_b32 v10, v14
	ds_store_b32 v8, v14
	s_or_b32 exec_lo, exec_lo, s4
	s_and_saveexec_b32 s4, s2
	s_cbranch_execz .LBB2_8
.LBB2_46:                               ;   in Loop: Header=BB2_9 Depth=1
	ds_store_b32 v9, v0
	s_branch .LBB2_8
.LBB2_47:                               ;   in Loop: Header=BB2_9 Depth=1
                                        ; implicit-def: $sgpr20
                                        ; implicit-def: $vgpr17
	s_branch .LBB2_20
.LBB2_48:
	s_waitcnt lgkmcnt(0)
	s_mov_b32 s8, 0
.LBB2_49:
	s_mov_b32 s0, exec_lo
	v_cmpx_eq_u32_e32 0, v0
	s_cbranch_execz .LBB2_52
; %bb.50:
	s_lshl_b64 s[0:1], s[12:13], 2
	v_mov_b32_e32 v0, 0
	s_add_u32 s0, s10, s0
	s_addc_u32 s1, s11, s1
	s_cmp_gt_i32 s8, 0
	global_load_b32 v1, v0, s[0:1]
	s_cselect_b32 s2, -1, 0
	s_waitcnt vmcnt(0)
	v_or_b32_e32 v1, v1, v6
	s_delay_alu instid0(VALU_DEP_1) | instskip(SKIP_1) | instid1(SALU_CYCLE_1)
	v_cmp_eq_u32_e32 vcc_lo, 0, v1
	s_and_b32 s2, vcc_lo, s2
	s_and_b32 exec_lo, exec_lo, s2
	s_cbranch_execz .LBB2_52
; %bb.51:
	s_add_i32 s2, s8, s24
	s_delay_alu instid0(SALU_CYCLE_1)
	v_mov_b32_e32 v1, s2
	global_store_b32 v0, v1, s[0:1]
.LBB2_52:
	s_endpgm
	.section	.rodata,"a",@progbits
	.p2align	6, 0x0
	.amdhsa_kernel _ZN9rocsolver6v33100L18getf2_panel_kernelIfiiPKPfEEvT0_S5_T2_lS5_lPS5_llPT1_S5_S5_S7_l
		.amdhsa_group_segment_fixed_size 8
		.amdhsa_private_segment_fixed_size 0
		.amdhsa_kernarg_size 352
		.amdhsa_user_sgpr_count 14
		.amdhsa_user_sgpr_dispatch_ptr 0
		.amdhsa_user_sgpr_queue_ptr 0
		.amdhsa_user_sgpr_kernarg_segment_ptr 1
		.amdhsa_user_sgpr_dispatch_id 0
		.amdhsa_user_sgpr_private_segment_size 0
		.amdhsa_wavefront_size32 1
		.amdhsa_uses_dynamic_stack 0
		.amdhsa_enable_private_segment 0
		.amdhsa_system_sgpr_workgroup_id_x 1
		.amdhsa_system_sgpr_workgroup_id_y 0
		.amdhsa_system_sgpr_workgroup_id_z 1
		.amdhsa_system_sgpr_workgroup_info 0
		.amdhsa_system_vgpr_workitem_id 1
		.amdhsa_next_free_vgpr 25
		.amdhsa_next_free_sgpr 40
		.amdhsa_reserve_vcc 1
		.amdhsa_float_round_mode_32 0
		.amdhsa_float_round_mode_16_64 0
		.amdhsa_float_denorm_mode_32 3
		.amdhsa_float_denorm_mode_16_64 3
		.amdhsa_dx10_clamp 1
		.amdhsa_ieee_mode 1
		.amdhsa_fp16_overflow 0
		.amdhsa_workgroup_processor_mode 1
		.amdhsa_memory_ordered 1
		.amdhsa_forward_progress 0
		.amdhsa_shared_vgpr_count 0
		.amdhsa_exception_fp_ieee_invalid_op 0
		.amdhsa_exception_fp_denorm_src 0
		.amdhsa_exception_fp_ieee_div_zero 0
		.amdhsa_exception_fp_ieee_overflow 0
		.amdhsa_exception_fp_ieee_underflow 0
		.amdhsa_exception_fp_ieee_inexact 0
		.amdhsa_exception_int_div_zero 0
	.end_amdhsa_kernel
	.section	.text._ZN9rocsolver6v33100L18getf2_panel_kernelIfiiPKPfEEvT0_S5_T2_lS5_lPS5_llPT1_S5_S5_S7_l,"axG",@progbits,_ZN9rocsolver6v33100L18getf2_panel_kernelIfiiPKPfEEvT0_S5_T2_lS5_lPS5_llPT1_S5_S5_S7_l,comdat
.Lfunc_end2:
	.size	_ZN9rocsolver6v33100L18getf2_panel_kernelIfiiPKPfEEvT0_S5_T2_lS5_lPS5_llPT1_S5_S5_S7_l, .Lfunc_end2-_ZN9rocsolver6v33100L18getf2_panel_kernelIfiiPKPfEEvT0_S5_T2_lS5_lPS5_llPT1_S5_S5_S7_l
                                        ; -- End function
	.section	.AMDGPU.csdata,"",@progbits
; Kernel info:
; codeLenInByte = 2224
; NumSgprs: 42
; NumVgprs: 25
; ScratchSize: 0
; MemoryBound: 0
; FloatMode: 240
; IeeeMode: 1
; LDSByteSize: 8 bytes/workgroup (compile time only)
; SGPRBlocks: 5
; VGPRBlocks: 3
; NumSGPRsForWavesPerEU: 42
; NumVGPRsForWavesPerEU: 25
; Occupancy: 16
; WaveLimiterHint : 1
; COMPUTE_PGM_RSRC2:SCRATCH_EN: 0
; COMPUTE_PGM_RSRC2:USER_SGPR: 14
; COMPUTE_PGM_RSRC2:TRAP_HANDLER: 0
; COMPUTE_PGM_RSRC2:TGID_X_EN: 1
; COMPUTE_PGM_RSRC2:TGID_Y_EN: 0
; COMPUTE_PGM_RSRC2:TGID_Z_EN: 1
; COMPUTE_PGM_RSRC2:TIDIG_COMP_CNT: 1
	.section	.text._ZN9rocsolver6v33100L23getf2_npvt_panel_kernelIfiiPKPfEEvT0_S5_T2_lS5_lPT1_S5_S5_,"axG",@progbits,_ZN9rocsolver6v33100L23getf2_npvt_panel_kernelIfiiPKPfEEvT0_S5_T2_lS5_lPT1_S5_S5_,comdat
	.globl	_ZN9rocsolver6v33100L23getf2_npvt_panel_kernelIfiiPKPfEEvT0_S5_T2_lS5_lPT1_S5_S5_ ; -- Begin function _ZN9rocsolver6v33100L23getf2_npvt_panel_kernelIfiiPKPfEEvT0_S5_T2_lS5_lPT1_S5_S5_
	.p2align	8
	.type	_ZN9rocsolver6v33100L23getf2_npvt_panel_kernelIfiiPKPfEEvT0_S5_T2_lS5_lPT1_S5_S5_,@function
_ZN9rocsolver6v33100L23getf2_npvt_panel_kernelIfiiPKPfEEvT0_S5_T2_lS5_lPT1_S5_S5_: ; @_ZN9rocsolver6v33100L23getf2_npvt_panel_kernelIfiiPKPfEEvT0_S5_T2_lS5_lPT1_S5_S5_
; %bb.0:
	s_load_b128 s[8:11], s[0:1], 0x8
	s_mov_b32 s4, s15
	s_ashr_i32 s5, s15, 31
	v_bfe_u32 v4, v0, 10, 10
	s_lshl_b64 s[2:3], s[4:5], 3
	v_and_b32_e32 v0, 0x3ff, v0
	s_waitcnt lgkmcnt(0)
	s_add_u32 s2, s8, s2
	s_addc_u32 s3, s9, s3
	s_lshl_b64 s[10:11], s[10:11], 2
	s_load_b64 s[8:9], s[2:3], 0x0
	s_clause 0x1
	s_load_b64 s[6:7], s[0:1], 0x0
	s_load_b32 s3, s[0:1], 0x44
	v_cmp_eq_u32_e64 s2, 0, v4
	s_waitcnt lgkmcnt(0)
	s_add_u32 s8, s8, s10
	s_addc_u32 s9, s9, s11
	s_delay_alu instid0(VALU_DEP_1)
	s_and_saveexec_b32 s10, s2
	s_cbranch_execz .LBB3_4
; %bb.1:
	v_mov_b32_e32 v1, 0
	s_mov_b32 s11, exec_lo
	v_cmpx_gt_i32_e64 s6, v0
	s_cbranch_execz .LBB3_3
; %bb.2:
	v_lshlrev_b32_e32 v1, 2, v0
	global_load_b32 v1, v1, s[8:9]
.LBB3_3:
	s_or_b32 exec_lo, exec_lo, s11
	v_lshl_add_u32 v2, v0, 2, 0
	s_waitcnt vmcnt(0)
	ds_store_b32 v2, v1
.LBB3_4:
	s_or_b32 exec_lo, exec_lo, s10
	s_cmp_lt_i32 s7, 1
	s_cbranch_scc1 .LBB3_25
; %bb.5:
	s_load_b32 s10, s[0:1], 0x18
	s_and_b32 s14, s3, 0xffff
	v_dual_mov_b32 v10, 0 :: v_dual_lshlrev_b32 v1, 2, v0
	v_add_nc_u32_e32 v5, 2, v4
	s_lshr_b32 s11, s3, 16
	v_cmp_gt_i32_e64 s3, s6, v0
	s_lshl_b32 s6, s14, 2
	v_lshlrev_b32_e32 v3, 2, v4
	s_add_i32 s6, s6, 0
	v_add_nc_u32_e32 v6, 0, v1
	v_add_nc_u32_e32 v7, s6, v1
	v_cmp_gt_u32_e32 vcc_lo, s7, v0
	v_add3_u32 v9, s6, v3, 8
	s_mov_b32 s12, 0
	s_add_i32 s13, s7, -1
	s_add_i32 s15, s6, 4
	s_and_b32 s14, s2, vcc_lo
	s_lshl_b32 s17, s11, 2
	s_mov_b32 s6, 0
	s_waitcnt lgkmcnt(0)
	v_mul_lo_u32 v8, v0, s10
	v_mad_u64_u32 v[1:2], null, s10, v5, v[0:1]
	s_mul_i32 s16, s10, s11
	s_branch .LBB3_7
.LBB3_6:                                ;   in Loop: Header=BB3_7 Depth=1
	s_or_b32 exec_lo, exec_lo, s18
	v_add_nc_u32_e32 v1, s10, v1
	v_add_nc_u32_e32 v9, 4, v9
	s_add_i32 s12, s12, 1
	s_delay_alu instid0(SALU_CYCLE_1)
	s_cmp_eq_u32 s12, s7
	s_cbranch_scc1 .LBB3_26
.LBB3_7:                                ; =>This Loop Header: Depth=1
                                        ;     Child Loop BB3_15 Depth 2
	s_lshl_b32 s18, s12, 2
	s_delay_alu instid0(SALU_CYCLE_1)
	s_add_i32 s19, s18, 0
	s_waitcnt lgkmcnt(0)
	s_waitcnt_vscnt null, 0x0
	s_barrier
	v_mov_b32_e32 v2, s19
	buffer_gl0_inv
	s_cmp_eq_u32 s6, 0
                                        ; implicit-def: $vgpr11
	s_cselect_b32 s19, -1, 0
	ds_load_b32 v2, v2
	s_waitcnt lgkmcnt(0)
	v_cmp_eq_f32_e32 vcc_lo, 0, v2
	s_and_b32 s19, vcc_lo, s19
	s_delay_alu instid0(SALU_CYCLE_1)
	s_and_not1_b32 vcc_lo, exec_lo, s19
	s_mov_b32 s19, -1
	s_cbranch_vccnz .LBB3_20
; %bb.8:                                ;   in Loop: Header=BB3_7 Depth=1
	s_and_not1_b32 vcc_lo, exec_lo, s19
	s_cbranch_vccz .LBB3_21
.LBB3_9:                                ;   in Loop: Header=BB3_7 Depth=1
	s_mov_b32 s19, exec_lo
	v_cmpx_ne_u32_e64 s12, v0
	s_cbranch_execnz .LBB3_22
.LBB3_10:                               ;   in Loop: Header=BB3_7 Depth=1
	s_or_b32 exec_lo, exec_lo, s19
	s_and_saveexec_b32 s19, s14
	s_cbranch_execz .LBB3_12
.LBB3_11:                               ;   in Loop: Header=BB3_7 Depth=1
	v_add_nc_u32_e32 v2, s12, v8
	s_delay_alu instid0(VALU_DEP_1) | instskip(NEXT) | instid1(VALU_DEP_1)
	v_ashrrev_i32_e32 v3, 31, v2
	v_lshlrev_b64 v[2:3], 2, v[2:3]
	s_delay_alu instid0(VALU_DEP_1) | instskip(NEXT) | instid1(VALU_DEP_2)
	v_add_co_u32 v2, vcc_lo, s8, v2
	v_add_co_ci_u32_e32 v3, vcc_lo, s9, v3, vcc_lo
	global_load_b32 v2, v[2:3], off
	s_waitcnt vmcnt(0)
	ds_store_b32 v7, v2
.LBB3_12:                               ;   in Loop: Header=BB3_7 Depth=1
	s_or_b32 exec_lo, exec_lo, s19
	v_cmp_lt_u32_e32 vcc_lo, s12, v0
	s_waitcnt lgkmcnt(0)
	s_waitcnt_vscnt null, 0x0
	s_barrier
	buffer_gl0_inv
	s_and_b32 s20, s3, vcc_lo
	s_delay_alu instid0(SALU_CYCLE_1)
	s_and_saveexec_b32 s19, s20
	s_cbranch_execz .LBB3_18
; %bb.13:                               ;   in Loop: Header=BB3_7 Depth=1
	v_add_nc_u32_e32 v12, s12, v5
	s_mov_b32 s20, exec_lo
	s_delay_alu instid0(VALU_DEP_1)
	v_cmpx_gt_i32_e64 s7, v12
	s_cbranch_execz .LBB3_16
; %bb.14:                               ;   in Loop: Header=BB3_7 Depth=1
	v_mov_b32_e32 v13, v9
	v_mov_b32_e32 v2, v1
	s_mov_b32 s21, 0
	.p2align	6
.LBB3_15:                               ;   Parent Loop BB3_7 Depth=1
                                        ; =>  This Inner Loop Header: Depth=2
	s_delay_alu instid0(VALU_DEP_1)
	v_ashrrev_i32_e32 v3, 31, v2
	ds_load_b32 v16, v13
	v_add_nc_u32_e32 v12, s11, v12
	v_add_nc_u32_e32 v13, s17, v13
	v_lshlrev_b64 v[14:15], 2, v[2:3]
	v_add_nc_u32_e32 v2, s16, v2
	s_delay_alu instid0(VALU_DEP_2) | instskip(NEXT) | instid1(VALU_DEP_3)
	v_add_co_u32 v14, vcc_lo, s8, v14
	v_add_co_ci_u32_e32 v15, vcc_lo, s9, v15, vcc_lo
	v_cmp_le_i32_e32 vcc_lo, s7, v12
	global_load_b32 v3, v[14:15], off
	s_or_b32 s21, vcc_lo, s21
	s_waitcnt vmcnt(0) lgkmcnt(0)
	v_fma_f32 v3, -v11, v16, v3
	global_store_b32 v[14:15], v3, off
	s_and_not1_b32 exec_lo, exec_lo, s21
	s_cbranch_execnz .LBB3_15
.LBB3_16:                               ;   in Loop: Header=BB3_7 Depth=1
	s_or_b32 exec_lo, exec_lo, s20
	s_cmp_lt_i32 s12, s13
	s_cselect_b32 s20, -1, 0
	s_delay_alu instid0(SALU_CYCLE_1) | instskip(NEXT) | instid1(SALU_CYCLE_1)
	s_and_b32 s20, s2, s20
	s_and_b32 exec_lo, exec_lo, s20
	s_cbranch_execz .LBB3_18
; %bb.17:                               ;   in Loop: Header=BB3_7 Depth=1
	s_add_i32 s20, s12, 1
	s_add_i32 s18, s15, s18
	v_mad_u64_u32 v[2:3], null, s20, s10, v[0:1]
	v_mov_b32_e32 v13, s18
	ds_load_b32 v13, v13
	v_ashrrev_i32_e32 v3, 31, v2
	s_delay_alu instid0(VALU_DEP_1) | instskip(NEXT) | instid1(VALU_DEP_1)
	v_lshlrev_b64 v[2:3], 2, v[2:3]
	v_add_co_u32 v2, vcc_lo, s8, v2
	s_delay_alu instid0(VALU_DEP_2)
	v_add_co_ci_u32_e32 v3, vcc_lo, s9, v3, vcc_lo
	global_load_b32 v12, v[2:3], off
	s_waitcnt vmcnt(0) lgkmcnt(0)
	v_fma_f32 v11, -v11, v13, v12
	global_store_b32 v[2:3], v11, off
	ds_store_b32 v6, v11
.LBB3_18:                               ;   in Loop: Header=BB3_7 Depth=1
	s_or_b32 exec_lo, exec_lo, s19
	v_cmp_ge_u32_e32 vcc_lo, s12, v0
	s_and_b32 s19, s2, vcc_lo
	s_delay_alu instid0(SALU_CYCLE_1)
	s_and_saveexec_b32 s18, s19
	s_cbranch_execz .LBB3_6
; %bb.19:                               ;   in Loop: Header=BB3_7 Depth=1
	ds_store_b32 v6, v10
	s_branch .LBB3_6
.LBB3_20:                               ;   in Loop: Header=BB3_7 Depth=1
	v_div_scale_f32 v3, null, v2, v2, 1.0
	s_delay_alu instid0(VALU_DEP_1) | instskip(SKIP_2) | instid1(VALU_DEP_1)
	v_rcp_f32_e32 v11, v3
	s_waitcnt_depctr 0xfff
	v_fma_f32 v12, -v3, v11, 1.0
	v_fmac_f32_e32 v11, v12, v11
	v_div_scale_f32 v12, vcc_lo, 1.0, v2, 1.0
	s_delay_alu instid0(VALU_DEP_1) | instskip(NEXT) | instid1(VALU_DEP_1)
	v_mul_f32_e32 v13, v12, v11
	v_fma_f32 v14, -v3, v13, v12
	s_delay_alu instid0(VALU_DEP_1) | instskip(NEXT) | instid1(VALU_DEP_1)
	v_fmac_f32_e32 v13, v14, v11
	v_fma_f32 v3, -v3, v13, v12
	s_delay_alu instid0(VALU_DEP_1) | instskip(NEXT) | instid1(VALU_DEP_1)
	v_div_fmas_f32 v3, v3, v11, v13
	v_div_fixup_f32 v11, v3, v2, 1.0
	s_cbranch_execnz .LBB3_9
.LBB3_21:                               ;   in Loop: Header=BB3_7 Depth=1
	v_mov_b32_e32 v11, v2
	s_add_i32 s6, s12, 1
	s_mov_b32 s19, exec_lo
	v_cmpx_ne_u32_e64 s12, v0
	s_cbranch_execz .LBB3_10
.LBB3_22:                               ;   in Loop: Header=BB3_7 Depth=1
	ds_load_b32 v2, v6
	v_cmp_le_u32_e32 vcc_lo, s12, v0
	s_and_b32 s20, s3, vcc_lo
	s_delay_alu instid0(SALU_CYCLE_1)
	s_and_b32 s21, s2, s20
	s_waitcnt lgkmcnt(0)
	v_mul_f32_e32 v11, v11, v2
	s_and_saveexec_b32 s20, s21
	s_cbranch_execz .LBB3_24
; %bb.23:                               ;   in Loop: Header=BB3_7 Depth=1
	v_mad_u64_u32 v[2:3], null, s12, s10, v[0:1]
	s_delay_alu instid0(VALU_DEP_1) | instskip(NEXT) | instid1(VALU_DEP_1)
	v_ashrrev_i32_e32 v3, 31, v2
	v_lshlrev_b64 v[2:3], 2, v[2:3]
	s_delay_alu instid0(VALU_DEP_1) | instskip(NEXT) | instid1(VALU_DEP_2)
	v_add_co_u32 v2, vcc_lo, s8, v2
	v_add_co_ci_u32_e32 v3, vcc_lo, s9, v3, vcc_lo
	global_store_b32 v[2:3], v11, off
.LBB3_24:                               ;   in Loop: Header=BB3_7 Depth=1
	s_or_b32 exec_lo, exec_lo, s20
	s_delay_alu instid0(SALU_CYCLE_1)
	s_or_b32 exec_lo, exec_lo, s19
	s_and_saveexec_b32 s19, s14
	s_cbranch_execnz .LBB3_11
	s_branch .LBB3_12
.LBB3_25:
	s_mov_b32 s6, 0
.LBB3_26:
	s_mov_b32 s2, exec_lo
	v_cmpx_eq_u32_e32 0, v0
	s_cbranch_execz .LBB3_29
; %bb.27:
	s_load_b64 s[2:3], s[0:1], 0x28
	s_lshl_b64 s[4:5], s[4:5], 2
	v_mov_b32_e32 v0, 0
	s_waitcnt lgkmcnt(0)
	s_add_u32 s2, s2, s4
	s_addc_u32 s3, s3, s5
	s_cmp_gt_i32 s6, 0
	global_load_b32 v1, v0, s[2:3]
	s_cselect_b32 s4, -1, 0
	s_waitcnt vmcnt(0)
	v_or_b32_e32 v1, v1, v4
	s_delay_alu instid0(VALU_DEP_1) | instskip(SKIP_1) | instid1(SALU_CYCLE_1)
	v_cmp_eq_u32_e32 vcc_lo, 0, v1
	s_and_b32 s4, vcc_lo, s4
	s_and_b32 exec_lo, exec_lo, s4
	s_cbranch_execz .LBB3_29
; %bb.28:
	s_load_b32 s0, s[0:1], 0x34
	s_waitcnt lgkmcnt(0)
	s_add_i32 s0, s6, s0
	s_delay_alu instid0(SALU_CYCLE_1)
	v_mov_b32_e32 v1, s0
	global_store_b32 v0, v1, s[2:3]
.LBB3_29:
	s_nop 0
	s_sendmsg sendmsg(MSG_DEALLOC_VGPRS)
	s_endpgm
	.section	.rodata,"a",@progbits
	.p2align	6, 0x0
	.amdhsa_kernel _ZN9rocsolver6v33100L23getf2_npvt_panel_kernelIfiiPKPfEEvT0_S5_T2_lS5_lPT1_S5_S5_
		.amdhsa_group_segment_fixed_size 0
		.amdhsa_private_segment_fixed_size 0
		.amdhsa_kernarg_size 312
		.amdhsa_user_sgpr_count 14
		.amdhsa_user_sgpr_dispatch_ptr 0
		.amdhsa_user_sgpr_queue_ptr 0
		.amdhsa_user_sgpr_kernarg_segment_ptr 1
		.amdhsa_user_sgpr_dispatch_id 0
		.amdhsa_user_sgpr_private_segment_size 0
		.amdhsa_wavefront_size32 1
		.amdhsa_uses_dynamic_stack 0
		.amdhsa_enable_private_segment 0
		.amdhsa_system_sgpr_workgroup_id_x 1
		.amdhsa_system_sgpr_workgroup_id_y 0
		.amdhsa_system_sgpr_workgroup_id_z 1
		.amdhsa_system_sgpr_workgroup_info 0
		.amdhsa_system_vgpr_workitem_id 1
		.amdhsa_next_free_vgpr 17
		.amdhsa_next_free_sgpr 22
		.amdhsa_reserve_vcc 1
		.amdhsa_float_round_mode_32 0
		.amdhsa_float_round_mode_16_64 0
		.amdhsa_float_denorm_mode_32 3
		.amdhsa_float_denorm_mode_16_64 3
		.amdhsa_dx10_clamp 1
		.amdhsa_ieee_mode 1
		.amdhsa_fp16_overflow 0
		.amdhsa_workgroup_processor_mode 1
		.amdhsa_memory_ordered 1
		.amdhsa_forward_progress 0
		.amdhsa_shared_vgpr_count 0
		.amdhsa_exception_fp_ieee_invalid_op 0
		.amdhsa_exception_fp_denorm_src 0
		.amdhsa_exception_fp_ieee_div_zero 0
		.amdhsa_exception_fp_ieee_overflow 0
		.amdhsa_exception_fp_ieee_underflow 0
		.amdhsa_exception_fp_ieee_inexact 0
		.amdhsa_exception_int_div_zero 0
	.end_amdhsa_kernel
	.section	.text._ZN9rocsolver6v33100L23getf2_npvt_panel_kernelIfiiPKPfEEvT0_S5_T2_lS5_lPT1_S5_S5_,"axG",@progbits,_ZN9rocsolver6v33100L23getf2_npvt_panel_kernelIfiiPKPfEEvT0_S5_T2_lS5_lPT1_S5_S5_,comdat
.Lfunc_end3:
	.size	_ZN9rocsolver6v33100L23getf2_npvt_panel_kernelIfiiPKPfEEvT0_S5_T2_lS5_lPT1_S5_S5_, .Lfunc_end3-_ZN9rocsolver6v33100L23getf2_npvt_panel_kernelIfiiPKPfEEvT0_S5_T2_lS5_lPT1_S5_S5_
                                        ; -- End function
	.section	.AMDGPU.csdata,"",@progbits
; Kernel info:
; codeLenInByte = 1204
; NumSgprs: 24
; NumVgprs: 17
; ScratchSize: 0
; MemoryBound: 0
; FloatMode: 240
; IeeeMode: 1
; LDSByteSize: 0 bytes/workgroup (compile time only)
; SGPRBlocks: 2
; VGPRBlocks: 2
; NumSGPRsForWavesPerEU: 24
; NumVGPRsForWavesPerEU: 17
; Occupancy: 16
; WaveLimiterHint : 1
; COMPUTE_PGM_RSRC2:SCRATCH_EN: 0
; COMPUTE_PGM_RSRC2:USER_SGPR: 14
; COMPUTE_PGM_RSRC2:TRAP_HANDLER: 0
; COMPUTE_PGM_RSRC2:TGID_X_EN: 1
; COMPUTE_PGM_RSRC2:TGID_Y_EN: 0
; COMPUTE_PGM_RSRC2:TGID_Z_EN: 1
; COMPUTE_PGM_RSRC2:TIDIG_COMP_CNT: 1
	.section	.text._ZN9rocsolver6v33100L25getf2_scale_update_kernelIfiPfEEvT0_S3_PT_T1_lS3_l,"axG",@progbits,_ZN9rocsolver6v33100L25getf2_scale_update_kernelIfiPfEEvT0_S3_PT_T1_lS3_l,comdat
	.globl	_ZN9rocsolver6v33100L25getf2_scale_update_kernelIfiPfEEvT0_S3_PT_T1_lS3_l ; -- Begin function _ZN9rocsolver6v33100L25getf2_scale_update_kernelIfiPfEEvT0_S3_PT_T1_lS3_l
	.p2align	8
	.type	_ZN9rocsolver6v33100L25getf2_scale_update_kernelIfiPfEEvT0_S3_PT_T1_lS3_l,@function
_ZN9rocsolver6v33100L25getf2_scale_update_kernelIfiPfEEvT0_S3_PT_T1_lS3_l: ; @_ZN9rocsolver6v33100L25getf2_scale_update_kernelIfiPfEEvT0_S3_PT_T1_lS3_l
; %bb.0:
	s_mov_b32 s8, s15
	s_clause 0x5
	s_load_b32 s4, s[0:1], 0x20
	s_load_b32 s15, s[0:1], 0x3c
	s_load_b64 s[10:11], s[0:1], 0x28
	s_load_b128 s[16:19], s[0:1], 0x8
	s_load_b64 s[2:3], s[0:1], 0x0
	s_load_b64 s[6:7], s[0:1], 0x18
	s_ashr_i32 s9, s8, 31
	v_and_b32_e32 v3, 0x3ff, v0
	v_bfe_u32 v2, v0, 10, 10
	s_waitcnt lgkmcnt(0)
	s_ashr_i32 s5, s4, 31
	s_lshr_b32 s1, s15, 16
	s_mul_i32 s0, s8, s11
	s_mul_hi_u32 s11, s8, s10
	s_mul_i32 s12, s9, s10
	s_add_i32 s0, s11, s0
	s_mul_i32 s10, s8, s10
	s_add_i32 s11, s0, s12
	v_mad_u32_u24 v0, v3, s1, v2
	s_lshl_b64 s[12:13], s[10:11], 2
	s_and_b32 s10, s15, 0xffff
	s_add_u32 s11, s18, s12
	s_addc_u32 s12, s19, s13
	s_lshl_b64 s[8:9], s[8:9], 2
	s_mov_b32 s0, exec_lo
	s_add_u32 s8, s16, s8
	s_addc_u32 s9, s17, s9
	v_cmpx_gt_i32_e64 s3, v0
	s_cbranch_execz .LBB4_2
; %bb.1:
	v_mul_lo_u32 v4, v0, s4
	s_lshl_b64 s[16:17], s[4:5], 2
	s_lshl_b32 s13, s10, 2
	s_add_u32 s15, s11, s16
	s_addc_u32 s18, s12, s17
	s_lshl_b64 s[16:17], s[6:7], 2
	v_lshlrev_b32_e32 v0, 2, v0
	s_add_u32 s15, s15, s16
	v_ashrrev_i32_e32 v5, 31, v4
	s_addc_u32 s16, s18, s17
	s_delay_alu instid0(VALU_DEP_2) | instskip(NEXT) | instid1(VALU_DEP_2)
	v_add3_u32 v0, 0, s13, v0
	v_lshlrev_b64 v[4:5], 2, v[4:5]
	s_delay_alu instid0(VALU_DEP_1) | instskip(NEXT) | instid1(VALU_DEP_2)
	v_add_co_u32 v4, vcc_lo, s15, v4
	v_add_co_ci_u32_e32 v5, vcc_lo, s16, v5, vcc_lo
	global_load_b32 v1, v[4:5], off
	s_waitcnt vmcnt(0)
	ds_store_b32 v0, v1
.LBB4_2:
	s_or_b32 exec_lo, exec_lo, s0
	s_mul_i32 s14, s14, s10
	v_cmp_eq_u32_e64 s0, 0, v2
	v_add_nc_u32_e32 v0, s14, v3
	s_lshl_b64 s[6:7], s[6:7], 2
	v_lshl_add_u32 v4, v3, 2, 0
	s_delay_alu instid0(VALU_DEP_2) | instskip(SKIP_3) | instid1(SALU_CYCLE_1)
	v_cmp_gt_i32_e32 vcc_lo, s2, v0
	s_add_u32 s2, s11, s6
	s_addc_u32 s6, s12, s7
	s_and_b32 s0, s0, vcc_lo
	s_and_saveexec_b32 s7, s0
	s_cbranch_execz .LBB4_4
; %bb.3:
	v_ashrrev_i32_e32 v1, 31, v0
	s_delay_alu instid0(VALU_DEP_1) | instskip(NEXT) | instid1(VALU_DEP_1)
	v_lshlrev_b64 v[0:1], 2, v[0:1]
	v_add_co_u32 v0, s0, s2, v0
	s_delay_alu instid0(VALU_DEP_1)
	v_add_co_ci_u32_e64 v1, s0, s6, v1, s0
	s_load_b32 s0, s[8:9], 0x0
	global_load_b32 v5, v[0:1], off offset:4
	s_waitcnt vmcnt(0) lgkmcnt(0)
	v_mul_f32_e32 v5, s0, v5
	ds_store_b32 v4, v5
	global_store_b32 v[0:1], v5, off offset:4
.LBB4_4:
	s_or_b32 exec_lo, exec_lo, s7
	v_cmp_gt_i32_e64 s0, s3, v2
	s_waitcnt lgkmcnt(0)
	s_waitcnt_vscnt null, 0x0
	s_barrier
	buffer_gl0_inv
	s_and_b32 s0, vcc_lo, s0
	s_delay_alu instid0(SALU_CYCLE_1)
	s_and_saveexec_b32 s7, s0
	s_cbranch_execz .LBB4_7
; %bb.5:
	ds_load_b32 v4, v4
	v_mul_lo_u32 v0, v2, s4
	s_lshl_b64 s[8:9], s[4:5], 2
	v_lshlrev_b32_e32 v1, 2, v2
	s_add_u32 s0, s2, s8
	s_addc_u32 s2, s6, s9
	s_add_u32 s0, s0, 4
	s_addc_u32 s2, s2, 0
	s_lshl_b32 s5, s10, 2
	v_add3_u32 v0, v3, v0, s14
	v_add3_u32 v3, 0, s5, v1
	s_mov_b32 s5, 0
	s_mul_i32 s4, s4, s1
	s_lshl_b32 s6, s1, 2
	.p2align	6
.LBB4_6:                                ; =>This Inner Loop Header: Depth=1
	v_ashrrev_i32_e32 v1, 31, v0
	ds_load_b32 v7, v3
	v_add_nc_u32_e32 v2, s1, v2
	v_add_nc_u32_e32 v3, s6, v3
	v_lshlrev_b64 v[5:6], 2, v[0:1]
	v_add_nc_u32_e32 v0, s4, v0
	s_delay_alu instid0(VALU_DEP_2) | instskip(NEXT) | instid1(VALU_DEP_3)
	v_add_co_u32 v5, vcc_lo, s0, v5
	v_add_co_ci_u32_e32 v6, vcc_lo, s2, v6, vcc_lo
	v_cmp_le_i32_e32 vcc_lo, s3, v2
	global_load_b32 v1, v[5:6], off
	s_or_b32 s5, vcc_lo, s5
	s_waitcnt vmcnt(0) lgkmcnt(0)
	v_fma_f32 v1, -v4, v7, v1
	global_store_b32 v[5:6], v1, off
	s_and_not1_b32 exec_lo, exec_lo, s5
	s_cbranch_execnz .LBB4_6
.LBB4_7:
	s_nop 0
	s_sendmsg sendmsg(MSG_DEALLOC_VGPRS)
	s_endpgm
	.section	.rodata,"a",@progbits
	.p2align	6, 0x0
	.amdhsa_kernel _ZN9rocsolver6v33100L25getf2_scale_update_kernelIfiPfEEvT0_S3_PT_T1_lS3_l
		.amdhsa_group_segment_fixed_size 0
		.amdhsa_private_segment_fixed_size 0
		.amdhsa_kernarg_size 304
		.amdhsa_user_sgpr_count 14
		.amdhsa_user_sgpr_dispatch_ptr 0
		.amdhsa_user_sgpr_queue_ptr 0
		.amdhsa_user_sgpr_kernarg_segment_ptr 1
		.amdhsa_user_sgpr_dispatch_id 0
		.amdhsa_user_sgpr_private_segment_size 0
		.amdhsa_wavefront_size32 1
		.amdhsa_uses_dynamic_stack 0
		.amdhsa_enable_private_segment 0
		.amdhsa_system_sgpr_workgroup_id_x 1
		.amdhsa_system_sgpr_workgroup_id_y 0
		.amdhsa_system_sgpr_workgroup_id_z 1
		.amdhsa_system_sgpr_workgroup_info 0
		.amdhsa_system_vgpr_workitem_id 1
		.amdhsa_next_free_vgpr 8
		.amdhsa_next_free_sgpr 20
		.amdhsa_reserve_vcc 1
		.amdhsa_float_round_mode_32 0
		.amdhsa_float_round_mode_16_64 0
		.amdhsa_float_denorm_mode_32 3
		.amdhsa_float_denorm_mode_16_64 3
		.amdhsa_dx10_clamp 1
		.amdhsa_ieee_mode 1
		.amdhsa_fp16_overflow 0
		.amdhsa_workgroup_processor_mode 1
		.amdhsa_memory_ordered 1
		.amdhsa_forward_progress 0
		.amdhsa_shared_vgpr_count 0
		.amdhsa_exception_fp_ieee_invalid_op 0
		.amdhsa_exception_fp_denorm_src 0
		.amdhsa_exception_fp_ieee_div_zero 0
		.amdhsa_exception_fp_ieee_overflow 0
		.amdhsa_exception_fp_ieee_underflow 0
		.amdhsa_exception_fp_ieee_inexact 0
		.amdhsa_exception_int_div_zero 0
	.end_amdhsa_kernel
	.section	.text._ZN9rocsolver6v33100L25getf2_scale_update_kernelIfiPfEEvT0_S3_PT_T1_lS3_l,"axG",@progbits,_ZN9rocsolver6v33100L25getf2_scale_update_kernelIfiPfEEvT0_S3_PT_T1_lS3_l,comdat
.Lfunc_end4:
	.size	_ZN9rocsolver6v33100L25getf2_scale_update_kernelIfiPfEEvT0_S3_PT_T1_lS3_l, .Lfunc_end4-_ZN9rocsolver6v33100L25getf2_scale_update_kernelIfiPfEEvT0_S3_PT_T1_lS3_l
                                        ; -- End function
	.section	.AMDGPU.csdata,"",@progbits
; Kernel info:
; codeLenInByte = 628
; NumSgprs: 22
; NumVgprs: 8
; ScratchSize: 0
; MemoryBound: 0
; FloatMode: 240
; IeeeMode: 1
; LDSByteSize: 0 bytes/workgroup (compile time only)
; SGPRBlocks: 2
; VGPRBlocks: 0
; NumSGPRsForWavesPerEU: 22
; NumVGPRsForWavesPerEU: 8
; Occupancy: 16
; WaveLimiterHint : 0
; COMPUTE_PGM_RSRC2:SCRATCH_EN: 0
; COMPUTE_PGM_RSRC2:USER_SGPR: 14
; COMPUTE_PGM_RSRC2:TRAP_HANDLER: 0
; COMPUTE_PGM_RSRC2:TGID_X_EN: 1
; COMPUTE_PGM_RSRC2:TGID_Y_EN: 0
; COMPUTE_PGM_RSRC2:TGID_Z_EN: 1
; COMPUTE_PGM_RSRC2:TIDIG_COMP_CNT: 1
	.section	.text._ZN9rocsolver6v33100L25getf2_scale_update_kernelIfiPKPfEEvT0_S5_PT_T1_lS5_l,"axG",@progbits,_ZN9rocsolver6v33100L25getf2_scale_update_kernelIfiPKPfEEvT0_S5_PT_T1_lS5_l,comdat
	.globl	_ZN9rocsolver6v33100L25getf2_scale_update_kernelIfiPKPfEEvT0_S5_PT_T1_lS5_l ; -- Begin function _ZN9rocsolver6v33100L25getf2_scale_update_kernelIfiPKPfEEvT0_S5_PT_T1_lS5_l
	.p2align	8
	.type	_ZN9rocsolver6v33100L25getf2_scale_update_kernelIfiPKPfEEvT0_S5_PT_T1_lS5_l,@function
_ZN9rocsolver6v33100L25getf2_scale_update_kernelIfiPKPfEEvT0_S5_PT_T1_lS5_l: ; @_ZN9rocsolver6v33100L25getf2_scale_update_kernelIfiPKPfEEvT0_S5_PT_T1_lS5_l
; %bb.0:
	s_clause 0x2
	s_load_b32 s4, s[0:1], 0x20
	s_load_b32 s10, s[0:1], 0x3c
	s_load_b128 s[16:19], s[0:1], 0x8
	s_mov_b32 s6, s15
	s_ashr_i32 s7, s15, 31
	s_load_b64 s[2:3], s[0:1], 0x0
	s_lshl_b64 s[8:9], s[6:7], 3
	v_and_b32_e32 v3, 0x3ff, v0
	v_bfe_u32 v2, v0, 10, 10
	s_waitcnt lgkmcnt(0)
	s_ashr_i32 s5, s4, 31
	s_lshr_b32 s12, s10, 16
	s_and_b32 s13, s10, 0xffff
	s_add_u32 s8, s18, s8
	s_addc_u32 s9, s19, s9
	s_load_b64 s[10:11], s[0:1], 0x18
	s_load_b64 s[8:9], s[8:9], 0x0
	v_mad_u32_u24 v0, v3, s12, v2
	s_lshl_b64 s[0:1], s[6:7], 2
	s_delay_alu instid0(SALU_CYCLE_1)
	s_add_u32 s6, s16, s0
	s_addc_u32 s7, s17, s1
	s_mov_b32 s0, exec_lo
	v_cmpx_gt_i32_e64 s3, v0
	s_cbranch_execz .LBB5_2
; %bb.1:
	v_mul_lo_u32 v4, v0, s4
	s_lshl_b64 s[16:17], s[4:5], 2
	s_lshl_b32 s1, s13, 2
	s_waitcnt lgkmcnt(0)
	s_add_u32 s15, s8, s16
	s_addc_u32 s18, s9, s17
	s_lshl_b64 s[16:17], s[10:11], 2
	v_lshlrev_b32_e32 v0, 2, v0
	s_add_u32 s15, s15, s16
	v_ashrrev_i32_e32 v5, 31, v4
	s_addc_u32 s16, s18, s17
	s_delay_alu instid0(VALU_DEP_2) | instskip(NEXT) | instid1(VALU_DEP_2)
	v_add3_u32 v0, 0, s1, v0
	v_lshlrev_b64 v[4:5], 2, v[4:5]
	s_delay_alu instid0(VALU_DEP_1) | instskip(NEXT) | instid1(VALU_DEP_2)
	v_add_co_u32 v4, vcc_lo, s15, v4
	v_add_co_ci_u32_e32 v5, vcc_lo, s16, v5, vcc_lo
	global_load_b32 v1, v[4:5], off
	s_waitcnt vmcnt(0)
	ds_store_b32 v0, v1
.LBB5_2:
	s_or_b32 exec_lo, exec_lo, s0
	s_mul_i32 s14, s14, s13
	v_cmp_eq_u32_e64 s0, 0, v2
	v_add_nc_u32_e32 v0, s14, v3
	s_waitcnt lgkmcnt(0)
	s_lshl_b64 s[10:11], s[10:11], 2
	v_lshl_add_u32 v4, v3, 2, 0
	s_add_u32 s1, s8, s10
	v_cmp_gt_i32_e32 vcc_lo, s2, v0
	s_addc_u32 s2, s9, s11
	s_and_b32 s0, s0, vcc_lo
	s_delay_alu instid0(SALU_CYCLE_1)
	s_and_saveexec_b32 s8, s0
	s_cbranch_execz .LBB5_4
; %bb.3:
	v_ashrrev_i32_e32 v1, 31, v0
	s_delay_alu instid0(VALU_DEP_1) | instskip(NEXT) | instid1(VALU_DEP_1)
	v_lshlrev_b64 v[0:1], 2, v[0:1]
	v_add_co_u32 v0, s0, s1, v0
	s_delay_alu instid0(VALU_DEP_1)
	v_add_co_ci_u32_e64 v1, s0, s2, v1, s0
	s_load_b32 s0, s[6:7], 0x0
	global_load_b32 v5, v[0:1], off offset:4
	s_waitcnt vmcnt(0) lgkmcnt(0)
	v_mul_f32_e32 v5, s0, v5
	ds_store_b32 v4, v5
	global_store_b32 v[0:1], v5, off offset:4
.LBB5_4:
	s_or_b32 exec_lo, exec_lo, s8
	v_cmp_gt_i32_e64 s0, s3, v2
	s_waitcnt lgkmcnt(0)
	s_waitcnt_vscnt null, 0x0
	s_barrier
	buffer_gl0_inv
	s_and_b32 s0, vcc_lo, s0
	s_delay_alu instid0(SALU_CYCLE_1)
	s_and_saveexec_b32 s6, s0
	s_cbranch_execz .LBB5_7
; %bb.5:
	ds_load_b32 v4, v4
	v_mul_lo_u32 v0, v2, s4
	s_lshl_b64 s[6:7], s[4:5], 2
	v_lshlrev_b32_e32 v1, 2, v2
	s_add_u32 s0, s1, s6
	s_addc_u32 s1, s2, s7
	s_add_u32 s0, s0, 4
	s_addc_u32 s1, s1, 0
	s_lshl_b32 s2, s13, 2
	v_add3_u32 v0, v3, v0, s14
	v_add3_u32 v3, 0, s2, v1
	s_mov_b32 s2, 0
	s_mul_i32 s4, s4, s12
	s_lshl_b32 s5, s12, 2
	.p2align	6
.LBB5_6:                                ; =>This Inner Loop Header: Depth=1
	v_ashrrev_i32_e32 v1, 31, v0
	ds_load_b32 v7, v3
	v_add_nc_u32_e32 v2, s12, v2
	v_add_nc_u32_e32 v3, s5, v3
	v_lshlrev_b64 v[5:6], 2, v[0:1]
	v_add_nc_u32_e32 v0, s4, v0
	s_delay_alu instid0(VALU_DEP_2) | instskip(NEXT) | instid1(VALU_DEP_3)
	v_add_co_u32 v5, vcc_lo, s0, v5
	v_add_co_ci_u32_e32 v6, vcc_lo, s1, v6, vcc_lo
	v_cmp_le_i32_e32 vcc_lo, s3, v2
	global_load_b32 v1, v[5:6], off
	s_or_b32 s2, vcc_lo, s2
	s_waitcnt vmcnt(0) lgkmcnt(0)
	v_fma_f32 v1, -v4, v7, v1
	global_store_b32 v[5:6], v1, off
	s_and_not1_b32 exec_lo, exec_lo, s2
	s_cbranch_execnz .LBB5_6
.LBB5_7:
	s_nop 0
	s_sendmsg sendmsg(MSG_DEALLOC_VGPRS)
	s_endpgm
	.section	.rodata,"a",@progbits
	.p2align	6, 0x0
	.amdhsa_kernel _ZN9rocsolver6v33100L25getf2_scale_update_kernelIfiPKPfEEvT0_S5_PT_T1_lS5_l
		.amdhsa_group_segment_fixed_size 0
		.amdhsa_private_segment_fixed_size 0
		.amdhsa_kernarg_size 304
		.amdhsa_user_sgpr_count 14
		.amdhsa_user_sgpr_dispatch_ptr 0
		.amdhsa_user_sgpr_queue_ptr 0
		.amdhsa_user_sgpr_kernarg_segment_ptr 1
		.amdhsa_user_sgpr_dispatch_id 0
		.amdhsa_user_sgpr_private_segment_size 0
		.amdhsa_wavefront_size32 1
		.amdhsa_uses_dynamic_stack 0
		.amdhsa_enable_private_segment 0
		.amdhsa_system_sgpr_workgroup_id_x 1
		.amdhsa_system_sgpr_workgroup_id_y 0
		.amdhsa_system_sgpr_workgroup_id_z 1
		.amdhsa_system_sgpr_workgroup_info 0
		.amdhsa_system_vgpr_workitem_id 1
		.amdhsa_next_free_vgpr 8
		.amdhsa_next_free_sgpr 20
		.amdhsa_reserve_vcc 1
		.amdhsa_float_round_mode_32 0
		.amdhsa_float_round_mode_16_64 0
		.amdhsa_float_denorm_mode_32 3
		.amdhsa_float_denorm_mode_16_64 3
		.amdhsa_dx10_clamp 1
		.amdhsa_ieee_mode 1
		.amdhsa_fp16_overflow 0
		.amdhsa_workgroup_processor_mode 1
		.amdhsa_memory_ordered 1
		.amdhsa_forward_progress 0
		.amdhsa_shared_vgpr_count 0
		.amdhsa_exception_fp_ieee_invalid_op 0
		.amdhsa_exception_fp_denorm_src 0
		.amdhsa_exception_fp_ieee_div_zero 0
		.amdhsa_exception_fp_ieee_overflow 0
		.amdhsa_exception_fp_ieee_underflow 0
		.amdhsa_exception_fp_ieee_inexact 0
		.amdhsa_exception_int_div_zero 0
	.end_amdhsa_kernel
	.section	.text._ZN9rocsolver6v33100L25getf2_scale_update_kernelIfiPKPfEEvT0_S5_PT_T1_lS5_l,"axG",@progbits,_ZN9rocsolver6v33100L25getf2_scale_update_kernelIfiPKPfEEvT0_S5_PT_T1_lS5_l,comdat
.Lfunc_end5:
	.size	_ZN9rocsolver6v33100L25getf2_scale_update_kernelIfiPKPfEEvT0_S5_PT_T1_lS5_l, .Lfunc_end5-_ZN9rocsolver6v33100L25getf2_scale_update_kernelIfiPKPfEEvT0_S5_PT_T1_lS5_l
                                        ; -- End function
	.section	.AMDGPU.csdata,"",@progbits
; Kernel info:
; codeLenInByte = 616
; NumSgprs: 22
; NumVgprs: 8
; ScratchSize: 0
; MemoryBound: 0
; FloatMode: 240
; IeeeMode: 1
; LDSByteSize: 0 bytes/workgroup (compile time only)
; SGPRBlocks: 2
; VGPRBlocks: 0
; NumSGPRsForWavesPerEU: 22
; NumVGPRsForWavesPerEU: 8
; Occupancy: 16
; WaveLimiterHint : 1
; COMPUTE_PGM_RSRC2:SCRATCH_EN: 0
; COMPUTE_PGM_RSRC2:USER_SGPR: 14
; COMPUTE_PGM_RSRC2:TRAP_HANDLER: 0
; COMPUTE_PGM_RSRC2:TGID_X_EN: 1
; COMPUTE_PGM_RSRC2:TGID_Y_EN: 0
; COMPUTE_PGM_RSRC2:TGID_Z_EN: 1
; COMPUTE_PGM_RSRC2:TIDIG_COMP_CNT: 1
	.section	.text._ZN9rocsolver6v33100L18getf2_panel_kernelIfllPfEEvT0_S3_T2_lS3_lPS3_llPT1_S3_S3_S5_l,"axG",@progbits,_ZN9rocsolver6v33100L18getf2_panel_kernelIfllPfEEvT0_S3_T2_lS3_lPS3_llPT1_S3_S3_S5_l,comdat
	.globl	_ZN9rocsolver6v33100L18getf2_panel_kernelIfllPfEEvT0_S3_T2_lS3_lPS3_llPT1_S3_S3_S5_l ; -- Begin function _ZN9rocsolver6v33100L18getf2_panel_kernelIfllPfEEvT0_S3_T2_lS3_lPS3_llPT1_S3_S3_S5_l
	.p2align	8
	.type	_ZN9rocsolver6v33100L18getf2_panel_kernelIfllPfEEvT0_S3_T2_lS3_lPS3_llPT1_S3_S3_S5_l,@function
_ZN9rocsolver6v33100L18getf2_panel_kernelIfllPfEEvT0_S3_T2_lS3_lPS3_llPT1_S3_S3_S5_l: ; @_ZN9rocsolver6v33100L18getf2_panel_kernelIfllPfEEvT0_S3_T2_lS3_lPS3_llPT1_S3_S3_S5_l
; %bb.0:
	s_clause 0x2
	s_load_b128 s[20:23], s[0:1], 0x58
	s_load_b64 s[2:3], s[0:1], 0x68
	s_load_b32 s37, s[0:1], 0x7c
	s_mov_b32 s28, s15
	s_mov_b32 s29, 0
	s_mov_b64 s[30:31], 0
	s_waitcnt lgkmcnt(0)
	s_cmp_eq_u64 s[22:23], 0
	s_cselect_b32 s33, -1, 0
	s_delay_alu instid0(SALU_CYCLE_1)
	s_and_b32 vcc_lo, exec_lo, s33
	s_cbranch_vccnz .LBB6_2
; %bb.1:
	s_mul_i32 s3, s28, s3
	s_mul_hi_u32 s4, s28, s2
	s_mul_i32 s2, s28, s2
	s_add_i32 s3, s4, s3
	s_delay_alu instid0(SALU_CYCLE_1) | instskip(NEXT) | instid1(SALU_CYCLE_1)
	s_lshl_b64 s[2:3], s[2:3], 3
	s_add_u32 s30, s22, s2
	s_addc_u32 s31, s23, s3
.LBB6_2:
	s_load_b512 s[4:19], s[0:1], 0x0
	v_bfe_u32 v7, v0, 10, 10
	v_dual_mov_b32 v2, 0 :: v_dual_and_b32 v1, 0x3ff, v0
                                        ; implicit-def: $vgpr0
	s_waitcnt lgkmcnt(0)
	s_mul_i32 s3, s28, s15
	s_mul_hi_u32 s15, s28, s14
	s_mul_i32 s2, s28, s14
	s_add_i32 s3, s15, s3
	s_delay_alu instid0(SALU_CYCLE_1) | instskip(SKIP_4) | instid1(SALU_CYCLE_1)
	s_lshl_b64 s[22:23], s[2:3], 2
	s_and_b32 s3, s37, 0xffff
	s_add_u32 s2, s8, s22
	s_addc_u32 s15, s9, s23
	s_lshl_b64 s[34:35], s[10:11], 2
	s_add_u32 s14, s2, s34
	s_addc_u32 s15, s15, s35
	s_lshl_b32 s10, s3, 2
	s_lshl_b32 s11, s6, 2
	s_add_i32 s45, s10, 8
	v_cmp_eq_u32_e64 s2, 0, v7
	s_add_i32 s36, s45, s11
	s_delay_alu instid0(SALU_CYCLE_1) | instskip(NEXT) | instid1(VALU_DEP_1)
	s_add_i32 s46, s36, s10
	s_and_saveexec_b32 s10, s2
	s_cbranch_execz .LBB6_6
; %bb.3:
	v_mov_b32_e32 v3, v2
	s_mov_b32 s11, exec_lo
	v_cmpx_gt_i64_e64 s[4:5], v[1:2]
	s_cbranch_execz .LBB6_5
; %bb.4:
	v_lshlrev_b32_e32 v0, 2, v1
	global_load_b32 v3, v0, s[14:15]
.LBB6_5:
	s_or_b32 exec_lo, exec_lo, s11
	v_lshlrev_b32_e32 v4, 2, v1
	s_waitcnt vmcnt(0)
	v_and_b32_e32 v0, 0x7fffffff, v3
	v_lshl_add_u32 v6, v1, 3, s46
	s_delay_alu instid0(VALU_DEP_3)
	v_add_nc_u32_e32 v5, 8, v4
	v_add_nc_u32_e32 v4, s36, v4
	ds_store_b32 v5, v3
	ds_store_b32 v4, v0
	ds_store_b64 v6, v[1:2]
.LBB6_6:
	s_or_b32 exec_lo, exec_lo, s10
	s_load_b128 s[24:27], s[0:1], 0x40
	v_cmp_lt_i64_e64 s0, s[6:7], 1
	s_delay_alu instid0(VALU_DEP_1)
	s_and_b32 vcc_lo, exec_lo, s0
	s_cbranch_vccnz .LBB6_47
; %bb.7:
	v_add_nc_u32_e32 v14, 2, v7
	v_mad_u64_u32 v[3:4], null, v1, s12, 0
	s_waitcnt lgkmcnt(0)
	s_mul_i32 s0, s28, s25
	s_mul_hi_u32 s1, s28, s24
	v_mad_u64_u32 v[5:6], null, s12, v14, 0
	s_add_i32 s1, s1, s0
	s_mul_i32 s0, s28, s24
	s_lshr_b32 s37, s37, 16
	s_lshl_b64 s[0:1], s[0:1], 3
	v_dual_mov_b32 v11, 0 :: v_dual_lshlrev_b32 v10, 2, v1
	s_delay_alu instid0(VALU_DEP_2)
	v_mad_u64_u32 v[8:9], null, v1, s13, v[4:5]
	v_or_b32_e32 v4, v1, v7
	s_add_u32 s10, s16, s0
	s_addc_u32 s16, s17, s1
	s_lshl_b64 s[0:1], s[18:19], 3
	v_lshlrev_b32_e32 v21, 3, v1
	s_add_u32 s38, s10, s0
	v_cmp_eq_u32_e64 s0, 0, v4
	v_mov_b32_e32 v4, v8
	v_mad_u64_u32 v[8:9], null, s13, v14, v[6:7]
	v_cmp_gt_u64_e32 vcc_lo, s[6:7], v[1:2]
	s_addc_u32 s39, s16, s1
	s_delay_alu instid0(VALU_DEP_3) | instskip(SKIP_2) | instid1(VALU_DEP_3)
	v_lshlrev_b64 v[3:4], 2, v[3:4]
	s_lshr_b32 s10, s3, 1
	s_cmp_gt_u32 s3, 1
	v_dual_mov_b32 v6, v8 :: v_dual_add_nc_u32 v15, s36, v10
	s_cselect_b32 s40, -1, 0
	s_add_u32 s41, s20, 1
	s_addc_u32 s42, s21, 0
	s_and_b32 s43, s2, vcc_lo
	v_add_co_u32 v18, vcc_lo, s14, v3
	v_add_co_ci_u32_e32 v19, vcc_lo, s15, v4, vcc_lo
	v_lshlrev_b64 v[3:4], 2, v[5:6]
	v_add_co_u32 v12, s17, s14, v10
	s_add_u32 s14, s6, -1
	v_add_co_ci_u32_e64 v13, null, s15, 0, s17
	s_addc_u32 s15, s7, -1
	s_add_i32 s44, s45, 4
	s_add_u32 s3, s34, s22
	s_addc_u32 s16, s35, s23
	v_add_co_u32 v3, vcc_lo, s3, v3
	v_add_co_ci_u32_e32 v4, vcc_lo, s16, v4, vcc_lo
	v_lshlrev_b32_e32 v7, 2, v7
	s_delay_alu instid0(VALU_DEP_3) | instskip(NEXT) | instid1(VALU_DEP_3)
	v_add_co_u32 v5, vcc_lo, v3, v10
	v_add_co_ci_u32_e32 v6, vcc_lo, 0, v4, vcc_lo
	v_cmp_gt_i64_e64 s1, s[4:5], v[1:2]
	v_cmp_le_i64_e64 s3, s[4:5], v[1:2]
	v_add_co_u32 v3, s4, s30, v21
	v_add_co_u32 v5, vcc_lo, s8, v5
	v_add_co_ci_u32_e64 v4, null, s31, 0, s4
	s_mul_i32 s4, s13, s37
	s_mul_hi_u32 s5, s12, s37
	v_add_nc_u32_e32 v16, s46, v21
	v_dual_mov_b32 v22, s46 :: v_dual_add_nc_u32 v17, 8, v10
	v_add_nc_u32_e32 v20, s45, v10
	v_add_co_ci_u32_e32 v6, vcc_lo, s9, v6, vcc_lo
	v_add3_u32 v21, s45, v7, 8
	s_add_i32 s5, s5, s4
	s_mul_i32 s4, s12, s37
	s_mov_b32 s11, 0
	s_lshl_b64 s[16:17], s[12:13], 2
	s_lshl_b64 s[18:19], s[4:5], 2
	s_lshl_b32 s45, s37, 2
	s_mov_b64 s[22:23], 0
	s_mov_b64 s[24:25], src_shared_base
	s_mov_b64 s[8:9], 0
	s_branch .LBB6_9
.LBB6_8:                                ;   in Loop: Header=BB6_9 Depth=1
	s_or_b32 exec_lo, exec_lo, s4
	v_add_co_u32 v5, vcc_lo, v5, s16
	s_add_u32 s22, s22, 1
	v_add_co_ci_u32_e32 v6, vcc_lo, s17, v6, vcc_lo
	v_add_nc_u32_e32 v21, 4, v21
	s_addc_u32 s23, s23, 0
	s_delay_alu instid0(SALU_CYCLE_1)
	s_cmp_eq_u64 s[22:23], s[6:7]
	s_cbranch_scc1 .LBB6_48
.LBB6_9:                                ; =>This Loop Header: Depth=1
                                        ;     Child Loop BB6_33 Depth 2
                                        ;     Child Loop BB6_40 Depth 2
	v_dual_mov_b32 v8, v2 :: v_dual_mov_b32 v7, v1
	s_and_not1_b32 vcc_lo, exec_lo, s40
	s_mov_b64 s[34:35], s[10:11]
	s_waitcnt lgkmcnt(0)
	s_waitcnt_vscnt null, 0x0
	s_barrier
	buffer_gl0_inv
	s_cbranch_vccz .LBB6_33
.LBB6_10:                               ;   in Loop: Header=BB6_9 Depth=1
	ds_load_b64 v[8:9], v22
	s_waitcnt lgkmcnt(0)
	v_lshlrev_b32_e32 v7, 2, v8
	v_readfirstlane_b32 s34, v8
	v_readfirstlane_b32 s35, v9
	s_delay_alu instid0(VALU_DEP_3)
	v_add_nc_u32_e32 v7, 8, v7
	ds_load_b32 v7, v7
	s_waitcnt lgkmcnt(0)
	v_cmp_neq_f32_e32 vcc_lo, 0, v7
	s_cbranch_vccz .LBB6_46
; %bb.11:                               ;   in Loop: Header=BB6_9 Depth=1
	v_div_scale_f32 v8, null, v7, v7, 1.0
	s_delay_alu instid0(VALU_DEP_1) | instskip(SKIP_2) | instid1(VALU_DEP_1)
	v_rcp_f32_e32 v9, v8
	s_waitcnt_depctr 0xfff
	v_fma_f32 v10, -v8, v9, 1.0
	v_fmac_f32_e32 v9, v10, v9
	v_div_scale_f32 v10, vcc_lo, 1.0, v7, 1.0
	s_delay_alu instid0(VALU_DEP_1) | instskip(NEXT) | instid1(VALU_DEP_1)
	v_mul_f32_e32 v23, v10, v9
	v_fma_f32 v24, -v8, v23, v10
	s_delay_alu instid0(VALU_DEP_1) | instskip(NEXT) | instid1(VALU_DEP_1)
	v_fmac_f32_e32 v23, v24, v9
	v_fma_f32 v8, -v8, v23, v10
	s_delay_alu instid0(VALU_DEP_1) | instskip(NEXT) | instid1(VALU_DEP_1)
	v_div_fmas_f32 v8, v8, v9, v23
	v_div_fixup_f32 v23, v8, v7, 1.0
	s_cbranch_execnz .LBB6_13
.LBB6_12:                               ;   in Loop: Header=BB6_9 Depth=1
	s_add_u32 s4, s22, 1
	s_addc_u32 s5, s23, 0
	v_mov_b32_e32 v23, v7
	s_cmp_eq_u64 s[8:9], 0
	s_mov_b64 s[34:35], s[22:23]
	s_cselect_b32 s9, s5, s9
	s_cselect_b32 s8, s4, s8
.LBB6_13:                               ;   in Loop: Header=BB6_9 Depth=1
	s_and_saveexec_b32 s4, s0
	s_cbranch_execz .LBB6_15
; %bb.14:                               ;   in Loop: Header=BB6_9 Depth=1
	s_lshl_b64 s[46:47], s[22:23], 3
	s_delay_alu instid0(SALU_CYCLE_1) | instskip(SKIP_3) | instid1(SALU_CYCLE_1)
	s_add_u32 s46, s38, s46
	s_addc_u32 s47, s39, s47
	s_add_u32 s48, s41, s34
	s_addc_u32 s49, s42, s35
	v_dual_mov_b32 v7, s48 :: v_dual_mov_b32 v8, s49
	global_store_b64 v11, v[7:8], s[46:47]
.LBB6_15:                               ;   in Loop: Header=BB6_9 Depth=1
	s_or_b32 exec_lo, exec_lo, s4
	v_cmp_eq_u64_e32 vcc_lo, s[34:35], v[1:2]
	s_mov_b32 s5, exec_lo
	v_cmpx_ne_u64_e64 s[34:35], v[1:2]
	s_cbranch_execz .LBB6_19
; %bb.16:                               ;   in Loop: Header=BB6_9 Depth=1
	ds_load_b32 v7, v17
	v_cmp_le_u64_e64 s4, s[22:23], v[1:2]
	s_delay_alu instid0(VALU_DEP_1) | instskip(NEXT) | instid1(SALU_CYCLE_1)
	s_and_b32 s4, s1, s4
	s_and_b32 s4, s2, s4
	s_waitcnt lgkmcnt(0)
	v_mul_f32_e32 v23, v23, v7
	s_and_saveexec_b32 s24, s4
	s_cbranch_execz .LBB6_18
; %bb.17:                               ;   in Loop: Header=BB6_9 Depth=1
	s_mul_i32 s4, s22, s13
	s_mul_hi_u32 s46, s22, s12
	s_mul_i32 s47, s23, s12
	s_add_i32 s4, s46, s4
	s_mul_i32 s46, s22, s12
	s_add_i32 s47, s4, s47
	s_delay_alu instid0(SALU_CYCLE_1) | instskip(NEXT) | instid1(SALU_CYCLE_1)
	s_lshl_b64 s[46:47], s[46:47], 2
	v_add_co_u32 v7, s4, v12, s46
	s_delay_alu instid0(VALU_DEP_1)
	v_add_co_ci_u32_e64 v8, s4, s47, v13, s4
	global_store_b32 v[7:8], v23, off
.LBB6_18:                               ;   in Loop: Header=BB6_9 Depth=1
	s_or_b32 exec_lo, exec_lo, s24
.LBB6_19:                               ;   in Loop: Header=BB6_9 Depth=1
	s_delay_alu instid0(SALU_CYCLE_1)
	s_or_b32 exec_lo, exec_lo, s5
	s_and_saveexec_b32 s5, s43
	s_cbranch_execz .LBB6_22
; %bb.20:                               ;   in Loop: Header=BB6_9 Depth=1
	s_lshl_b64 s[46:47], s[34:35], 2
	s_delay_alu instid0(SALU_CYCLE_1) | instskip(NEXT) | instid1(VALU_DEP_1)
	v_add_co_u32 v7, s4, v18, s46
	v_add_co_ci_u32_e64 v8, s4, s47, v19, s4
	v_cmp_eq_u64_e64 s4, s[22:23], v[1:2]
	global_load_b32 v7, v[7:8], off
	s_waitcnt vmcnt(0)
	ds_store_b32 v20, v7
	s_and_b32 exec_lo, exec_lo, s4
	s_cbranch_execz .LBB6_22
; %bb.21:                               ;   in Loop: Header=BB6_9 Depth=1
	ds_store_b32 v11, v23
.LBB6_22:                               ;   in Loop: Header=BB6_9 Depth=1
	s_or_b32 exec_lo, exec_lo, s5
	s_cmp_lg_u64 s[34:35], s[22:23]
	s_waitcnt lgkmcnt(0)
	s_waitcnt_vscnt null, 0x0
	s_cselect_b32 s4, -1, 0
	s_barrier
	s_and_b32 s4, s43, s4
	buffer_gl0_inv
	s_and_saveexec_b32 s24, s4
	s_cbranch_execz .LBB6_28
; %bb.23:                               ;   in Loop: Header=BB6_9 Depth=1
	s_lshl_b64 s[4:5], s[22:23], 2
	s_lshl_b64 s[46:47], s[34:35], 2
	v_add_co_u32 v8, s4, v18, s4
	s_delay_alu instid0(VALU_DEP_1) | instskip(SKIP_4) | instid1(VALU_DEP_2)
	v_add_co_ci_u32_e64 v9, s4, s5, v19, s4
	v_cmp_ne_u64_e64 s4, s[22:23], v[1:2]
	v_cmp_lt_u64_e64 s5, s[22:23], v[1:2]
	s_add_u32 s48, s22, 1
	s_addc_u32 s49, s23, 0
	v_cndmask_b32_e64 v25, s25, v9, s4
	v_cndmask_b32_e64 v24, 0, v8, s4
	flat_load_b32 v7, v[24:25]
	ds_load_b32 v10, v20
	ds_load_b32 v24, v11
	s_waitcnt lgkmcnt(0)
	v_mul_f32_e32 v24, v24, v10
	s_delay_alu instid0(VALU_DEP_1) | instskip(SKIP_1) | instid1(VALU_DEP_1)
	v_cndmask_b32_e64 v26, 0, v24, s5
	v_add_co_u32 v24, s5, v18, s46
	v_add_co_ci_u32_e64 v25, s5, s47, v19, s5
	s_mov_b32 s46, exec_lo
	s_waitcnt vmcnt(0)
	v_sub_f32_e32 v7, v7, v26
	s_clause 0x1
	global_store_b32 v[24:25], v7, off
	global_store_b32 v[8:9], v10, off
	v_cmpx_eq_u64_e64 s[48:49], v[1:2]
	s_cbranch_execz .LBB6_25
; %bb.24:                               ;   in Loop: Header=BB6_9 Depth=1
	s_lshl_b32 s5, s34, 2
	s_delay_alu instid0(SALU_CYCLE_1) | instskip(SKIP_1) | instid1(SALU_CYCLE_1)
	s_add_i32 s47, s5, 8
	s_add_i32 s5, s36, s5
	v_dual_mov_b32 v9, s5 :: v_dual_and_b32 v0, 0x7fffffff, v7
	v_mov_b32_e32 v8, s47
	ds_store_b32 v8, v7
	ds_store_b32 v9, v0
.LBB6_25:                               ;   in Loop: Header=BB6_9 Depth=1
	s_or_b32 exec_lo, exec_lo, s46
	s_or_b32 s4, s33, s4
	s_delay_alu instid0(SALU_CYCLE_1) | instskip(NEXT) | instid1(SALU_CYCLE_1)
	s_xor_b32 s5, s4, -1
	s_and_saveexec_b32 s4, s5
	s_cbranch_execz .LBB6_27
; %bb.26:                               ;   in Loop: Header=BB6_9 Depth=1
	s_lshl_b64 s[34:35], s[34:35], 3
	s_delay_alu instid0(SALU_CYCLE_1) | instskip(SKIP_1) | instid1(SALU_CYCLE_1)
	s_add_u32 s34, s30, s34
	s_addc_u32 s35, s31, s35
	v_dual_mov_b32 v7, s34 :: v_dual_mov_b32 v8, s35
	s_clause 0x1
	flat_load_b64 v[9:10], v[7:8]
	flat_load_b64 v[24:25], v[3:4]
	s_waitcnt vmcnt(1) lgkmcnt(1)
	flat_store_b64 v[3:4], v[9:10]
	s_waitcnt vmcnt(0) lgkmcnt(1)
	flat_store_b64 v[7:8], v[24:25]
.LBB6_27:                               ;   in Loop: Header=BB6_9 Depth=1
	s_or_b32 exec_lo, exec_lo, s4
.LBB6_28:                               ;   in Loop: Header=BB6_9 Depth=1
	s_delay_alu instid0(SALU_CYCLE_1) | instskip(SKIP_1) | instid1(VALU_DEP_1)
	s_or_b32 exec_lo, exec_lo, s24
	v_cmp_ge_u64_e64 s4, s[22:23], v[1:2]
	s_or_b32 s5, s3, s4
	s_delay_alu instid0(SALU_CYCLE_1) | instskip(NEXT) | instid1(SALU_CYCLE_1)
	s_or_b32 s5, s5, vcc_lo
	s_xor_b32 s5, s5, -1
	s_delay_alu instid0(SALU_CYCLE_1)
	s_and_saveexec_b32 s24, s5
	s_cbranch_execnz .LBB6_38
; %bb.29:                               ;   in Loop: Header=BB6_9 Depth=1
	s_or_b32 exec_lo, exec_lo, s24
	s_and_b32 s5, s2, s4
	s_delay_alu instid0(SALU_CYCLE_1)
	s_and_saveexec_b32 s4, s5
	s_cbranch_execnz .LBB6_44
.LBB6_30:                               ;   in Loop: Header=BB6_9 Depth=1
	s_or_b32 exec_lo, exec_lo, s4
	s_and_saveexec_b32 s4, s2
	s_cbranch_execz .LBB6_8
	s_branch .LBB6_45
	.p2align	6
.LBB6_31:                               ;   in Loop: Header=BB6_33 Depth=2
	s_or_b32 exec_lo, exec_lo, s4
.LBB6_32:                               ;   in Loop: Header=BB6_33 Depth=2
	s_delay_alu instid0(SALU_CYCLE_1)
	s_or_b32 exec_lo, exec_lo, s5
	v_cmp_lt_u64_e64 s4, s[34:35], 2
	s_lshr_b64 s[34:35], s[34:35], 1
	s_waitcnt lgkmcnt(0)
	s_barrier
	buffer_gl0_inv
	s_and_b32 vcc_lo, exec_lo, s4
	s_cbranch_vccnz .LBB6_10
.LBB6_33:                               ;   Parent Loop BB6_9 Depth=1
                                        ; =>  This Inner Loop Header: Depth=2
	v_cmp_gt_u64_e32 vcc_lo, s[34:35], v[1:2]
	s_and_b32 s4, s2, vcc_lo
	s_delay_alu instid0(SALU_CYCLE_1)
	s_and_saveexec_b32 s5, s4
	s_cbranch_execz .LBB6_32
; %bb.34:                               ;   in Loop: Header=BB6_33 Depth=2
	v_lshl_add_u32 v9, s34, 2, v15
	s_mov_b32 s46, exec_lo
	ds_load_b32 v23, v9
	v_lshl_add_u32 v9, s34, 3, v16
	ds_load_b64 v[9:10], v9
	s_waitcnt lgkmcnt(1)
	v_cmp_lt_f32_e64 s24, v0, v23
	v_cmpx_nlt_f32_e32 v0, v23
	s_cbranch_execz .LBB6_36
; %bb.35:                               ;   in Loop: Header=BB6_33 Depth=2
	s_waitcnt lgkmcnt(0)
	v_cmp_gt_i64_e32 vcc_lo, v[7:8], v[9:10]
	v_cmp_eq_f32_e64 s4, v0, v23
	s_and_not1_b32 s24, s24, exec_lo
	s_delay_alu instid0(VALU_DEP_1) | instskip(NEXT) | instid1(SALU_CYCLE_1)
	s_and_b32 s4, s4, vcc_lo
	s_and_b32 s4, s4, exec_lo
	s_delay_alu instid0(SALU_CYCLE_1)
	s_or_b32 s24, s24, s4
.LBB6_36:                               ;   in Loop: Header=BB6_33 Depth=2
	s_or_b32 exec_lo, exec_lo, s46
	s_delay_alu instid0(VALU_DEP_2)
	s_and_saveexec_b32 s4, s24
	s_cbranch_execz .LBB6_31
; %bb.37:                               ;   in Loop: Header=BB6_33 Depth=2
	s_waitcnt lgkmcnt(0)
	v_dual_mov_b32 v0, v23 :: v_dual_mov_b32 v7, v9
	v_mov_b32_e32 v8, v10
	ds_store_b32 v15, v23
	ds_store_b64 v16, v[9:10]
	s_branch .LBB6_31
.LBB6_38:                               ;   in Loop: Header=BB6_9 Depth=1
	v_add_co_u32 v7, s5, s22, v14
	s_delay_alu instid0(VALU_DEP_1) | instskip(SKIP_1) | instid1(VALU_DEP_1)
	v_add_co_ci_u32_e64 v8, null, s23, 0, s5
	s_mov_b32 s34, exec_lo
	v_cmpx_gt_i64_e64 s[6:7], v[7:8]
	s_cbranch_execz .LBB6_41
; %bb.39:                               ;   in Loop: Header=BB6_9 Depth=1
	v_mov_b32_e32 v24, v21
	v_dual_mov_b32 v10, v6 :: v_dual_mov_b32 v9, v5
	s_mov_b32 s35, 0
	.p2align	6
.LBB6_40:                               ;   Parent Loop BB6_9 Depth=1
                                        ; =>  This Inner Loop Header: Depth=2
	global_load_b32 v25, v[9:10], off
	ds_load_b32 v26, v24
	v_add_co_u32 v7, vcc_lo, v7, s37
	v_add_co_ci_u32_e32 v8, vcc_lo, 0, v8, vcc_lo
	v_add_nc_u32_e32 v24, s45, v24
	s_delay_alu instid0(VALU_DEP_2)
	v_cmp_le_i64_e32 vcc_lo, s[6:7], v[7:8]
	s_or_b32 s35, vcc_lo, s35
	s_waitcnt vmcnt(0) lgkmcnt(0)
	v_fma_f32 v25, -v23, v26, v25
	global_store_b32 v[9:10], v25, off
	v_add_co_u32 v9, s5, v9, s18
	s_delay_alu instid0(VALU_DEP_1)
	v_add_co_ci_u32_e64 v10, s5, s19, v10, s5
	s_and_not1_b32 exec_lo, exec_lo, s35
	s_cbranch_execnz .LBB6_40
.LBB6_41:                               ;   in Loop: Header=BB6_9 Depth=1
	s_or_b32 exec_lo, exec_lo, s34
	v_cmp_lt_i64_e64 s5, s[22:23], s[14:15]
	s_delay_alu instid0(VALU_DEP_1) | instskip(NEXT) | instid1(SALU_CYCLE_1)
	s_and_b32 s34, s2, s5
	s_and_saveexec_b32 s5, s34
	s_cbranch_execz .LBB6_43
; %bb.42:                               ;   in Loop: Header=BB6_9 Depth=1
	s_add_u32 s34, s22, 1
	s_addc_u32 s47, s23, 0
	s_mul_i32 s35, s34, s13
	s_mul_hi_u32 s46, s34, s12
	s_mul_i32 s47, s47, s12
	s_add_i32 s35, s46, s35
	s_mul_i32 s34, s34, s12
	s_add_i32 s35, s35, s47
	s_delay_alu instid0(SALU_CYCLE_1) | instskip(NEXT) | instid1(SALU_CYCLE_1)
	s_lshl_b64 s[34:35], s[34:35], 2
	v_add_co_u32 v7, vcc_lo, v12, s34
	v_add_co_ci_u32_e32 v8, vcc_lo, s35, v13, vcc_lo
	s_lshl_b32 s34, s22, 2
	s_delay_alu instid0(SALU_CYCLE_1)
	s_add_i32 s34, s44, s34
	global_load_b32 v0, v[7:8], off
	v_mov_b32_e32 v9, s34
	ds_load_b32 v9, v9
	s_waitcnt vmcnt(0) lgkmcnt(0)
	v_fma_f32 v9, -v23, v9, v0
	s_delay_alu instid0(VALU_DEP_1)
	v_and_b32_e32 v0, 0x7fffffff, v9
	global_store_b32 v[7:8], v9, off
	ds_store_b32 v17, v9
	ds_store_b32 v15, v0
.LBB6_43:                               ;   in Loop: Header=BB6_9 Depth=1
	s_or_b32 exec_lo, exec_lo, s5
	s_delay_alu instid0(SALU_CYCLE_1) | instskip(SKIP_1) | instid1(SALU_CYCLE_1)
	s_or_b32 exec_lo, exec_lo, s24
	s_and_b32 s5, s2, s4
	s_and_saveexec_b32 s4, s5
	s_cbranch_execz .LBB6_30
.LBB6_44:                               ;   in Loop: Header=BB6_9 Depth=1
	v_mov_b32_e32 v0, 0
	ds_store_b32 v17, v11
	ds_store_b32 v15, v11
	s_or_b32 exec_lo, exec_lo, s4
	s_and_saveexec_b32 s4, s2
	s_cbranch_execz .LBB6_8
.LBB6_45:                               ;   in Loop: Header=BB6_9 Depth=1
	ds_store_b64 v16, v[1:2]
	s_branch .LBB6_8
.LBB6_46:                               ;   in Loop: Header=BB6_9 Depth=1
                                        ; implicit-def: $sgpr34_sgpr35
                                        ; implicit-def: $vgpr23
	s_branch .LBB6_12
.LBB6_47:
	s_mov_b64 s[8:9], 0
.LBB6_48:
	s_mov_b32 s0, exec_lo
	v_cmpx_eq_u32_e32 0, v1
	s_cbranch_execz .LBB6_51
; %bb.49:
	s_lshl_b64 s[0:1], s[28:29], 3
	v_mov_b32_e32 v0, 0
	s_waitcnt lgkmcnt(0)
	s_add_u32 s0, s26, s0
	s_addc_u32 s1, s27, s1
	v_cmp_gt_i64_e64 s3, s[8:9], 0
	global_load_b64 v[1:2], v0, s[0:1]
	s_waitcnt vmcnt(0)
	v_readfirstlane_b32 s4, v1
	v_readfirstlane_b32 s5, v2
	s_delay_alu instid0(VALU_DEP_1) | instskip(SKIP_1) | instid1(SALU_CYCLE_1)
	s_cmp_eq_u64 s[4:5], 0
	s_cselect_b32 s4, -1, 0
	s_and_b32 s3, s4, s3
	s_delay_alu instid0(SALU_CYCLE_1) | instskip(NEXT) | instid1(SALU_CYCLE_1)
	s_and_b32 s2, s2, s3
	s_and_b32 exec_lo, exec_lo, s2
	s_cbranch_execz .LBB6_51
; %bb.50:
	s_add_u32 s2, s8, s20
	s_addc_u32 s3, s9, s21
	s_delay_alu instid0(SALU_CYCLE_1)
	v_dual_mov_b32 v1, s2 :: v_dual_mov_b32 v2, s3
	global_store_b64 v0, v[1:2], s[0:1]
.LBB6_51:
	s_endpgm
	.section	.rodata,"a",@progbits
	.p2align	6, 0x0
	.amdhsa_kernel _ZN9rocsolver6v33100L18getf2_panel_kernelIfllPfEEvT0_S3_T2_lS3_lPS3_llPT1_S3_S3_S5_l
		.amdhsa_group_segment_fixed_size 8
		.amdhsa_private_segment_fixed_size 0
		.amdhsa_kernarg_size 368
		.amdhsa_user_sgpr_count 14
		.amdhsa_user_sgpr_dispatch_ptr 0
		.amdhsa_user_sgpr_queue_ptr 0
		.amdhsa_user_sgpr_kernarg_segment_ptr 1
		.amdhsa_user_sgpr_dispatch_id 0
		.amdhsa_user_sgpr_private_segment_size 0
		.amdhsa_wavefront_size32 1
		.amdhsa_uses_dynamic_stack 0
		.amdhsa_enable_private_segment 0
		.amdhsa_system_sgpr_workgroup_id_x 1
		.amdhsa_system_sgpr_workgroup_id_y 0
		.amdhsa_system_sgpr_workgroup_id_z 1
		.amdhsa_system_sgpr_workgroup_info 0
		.amdhsa_system_vgpr_workitem_id 1
		.amdhsa_next_free_vgpr 27
		.amdhsa_next_free_sgpr 50
		.amdhsa_reserve_vcc 1
		.amdhsa_float_round_mode_32 0
		.amdhsa_float_round_mode_16_64 0
		.amdhsa_float_denorm_mode_32 3
		.amdhsa_float_denorm_mode_16_64 3
		.amdhsa_dx10_clamp 1
		.amdhsa_ieee_mode 1
		.amdhsa_fp16_overflow 0
		.amdhsa_workgroup_processor_mode 1
		.amdhsa_memory_ordered 1
		.amdhsa_forward_progress 0
		.amdhsa_shared_vgpr_count 0
		.amdhsa_exception_fp_ieee_invalid_op 0
		.amdhsa_exception_fp_denorm_src 0
		.amdhsa_exception_fp_ieee_div_zero 0
		.amdhsa_exception_fp_ieee_overflow 0
		.amdhsa_exception_fp_ieee_underflow 0
		.amdhsa_exception_fp_ieee_inexact 0
		.amdhsa_exception_int_div_zero 0
	.end_amdhsa_kernel
	.section	.text._ZN9rocsolver6v33100L18getf2_panel_kernelIfllPfEEvT0_S3_T2_lS3_lPS3_llPT1_S3_S3_S5_l,"axG",@progbits,_ZN9rocsolver6v33100L18getf2_panel_kernelIfllPfEEvT0_S3_T2_lS3_lPS3_llPT1_S3_S3_S5_l,comdat
.Lfunc_end6:
	.size	_ZN9rocsolver6v33100L18getf2_panel_kernelIfllPfEEvT0_S3_T2_lS3_lPS3_llPT1_S3_S3_S5_l, .Lfunc_end6-_ZN9rocsolver6v33100L18getf2_panel_kernelIfllPfEEvT0_S3_T2_lS3_lPS3_llPT1_S3_S3_S5_l
                                        ; -- End function
	.section	.AMDGPU.csdata,"",@progbits
; Kernel info:
; codeLenInByte = 2396
; NumSgprs: 52
; NumVgprs: 27
; ScratchSize: 0
; MemoryBound: 1
; FloatMode: 240
; IeeeMode: 1
; LDSByteSize: 8 bytes/workgroup (compile time only)
; SGPRBlocks: 6
; VGPRBlocks: 3
; NumSGPRsForWavesPerEU: 52
; NumVGPRsForWavesPerEU: 27
; Occupancy: 16
; WaveLimiterHint : 0
; COMPUTE_PGM_RSRC2:SCRATCH_EN: 0
; COMPUTE_PGM_RSRC2:USER_SGPR: 14
; COMPUTE_PGM_RSRC2:TRAP_HANDLER: 0
; COMPUTE_PGM_RSRC2:TGID_X_EN: 1
; COMPUTE_PGM_RSRC2:TGID_Y_EN: 0
; COMPUTE_PGM_RSRC2:TGID_Z_EN: 1
; COMPUTE_PGM_RSRC2:TIDIG_COMP_CNT: 1
	.section	.text._ZN9rocsolver6v33100L23getf2_npvt_panel_kernelIfllPfEEvT0_S3_T2_lS3_lPT1_S3_S3_,"axG",@progbits,_ZN9rocsolver6v33100L23getf2_npvt_panel_kernelIfllPfEEvT0_S3_T2_lS3_lPT1_S3_S3_,comdat
	.globl	_ZN9rocsolver6v33100L23getf2_npvt_panel_kernelIfllPfEEvT0_S3_T2_lS3_lPT1_S3_S3_ ; -- Begin function _ZN9rocsolver6v33100L23getf2_npvt_panel_kernelIfllPfEEvT0_S3_T2_lS3_lPT1_S3_S3_
	.p2align	8
	.type	_ZN9rocsolver6v33100L23getf2_npvt_panel_kernelIfllPfEEvT0_S3_T2_lS3_lPT1_S3_S3_,@function
_ZN9rocsolver6v33100L23getf2_npvt_panel_kernelIfllPfEEvT0_S3_T2_lS3_lPT1_S3_S3_: ; @_ZN9rocsolver6v33100L23getf2_npvt_panel_kernelIfllPfEEvT0_S3_T2_lS3_lPT1_S3_S3_
; %bb.0:
	s_mov_b32 s6, s15
	s_clause 0x2
	s_load_b256 s[8:15], s[0:1], 0x20
	s_load_b256 s[16:23], s[0:1], 0x0
	s_load_b32 s3, s[0:1], 0x54
	v_mov_b32_e32 v3, 0
	v_bfe_u32 v5, v0, 10, 10
	v_and_b32_e32 v1, 0x3ff, v0
	s_mov_b32 s7, 0
	s_delay_alu instid0(VALU_DEP_3)
	v_mov_b32_e32 v2, v3
	s_waitcnt lgkmcnt(0)
	s_mul_i32 s2, s6, s11
	s_mul_hi_u32 s5, s6, s10
	s_mul_i32 s4, s6, s10
	s_add_i32 s5, s5, s2
	v_cmp_eq_u32_e64 s2, 0, v5
	s_lshl_b64 s[4:5], s[4:5], 2
	s_delay_alu instid0(SALU_CYCLE_1) | instskip(SKIP_2) | instid1(SALU_CYCLE_1)
	s_add_u32 s10, s20, s4
	s_addc_u32 s11, s21, s5
	s_lshl_b64 s[14:15], s[22:23], 2
	s_add_u32 s22, s10, s14
	s_addc_u32 s23, s11, s15
	s_and_saveexec_b32 s10, s2
	s_cbranch_execz .LBB7_4
; %bb.1:
	s_mov_b32 s11, exec_lo
	v_cmpx_gt_i64_e64 s[16:17], v[1:2]
	s_cbranch_execz .LBB7_3
; %bb.2:
	v_lshlrev_b32_e32 v0, 2, v1
	global_load_b32 v3, v0, s[22:23]
.LBB7_3:
	s_or_b32 exec_lo, exec_lo, s11
	v_lshl_add_u32 v0, v1, 2, 0
	s_waitcnt vmcnt(0)
	ds_store_b32 v0, v3
.LBB7_4:
	s_or_b32 exec_lo, exec_lo, s10
	v_cmp_lt_i64_e64 s10, s[18:19], 1
	s_delay_alu instid0(VALU_DEP_1)
	s_and_b32 vcc_lo, exec_lo, s10
	s_cbranch_vccnz .LBB7_25
; %bb.5:
	v_dual_mov_b32 v9, 0 :: v_dual_add_nc_u32 v0, 2, v5
	v_mad_u64_u32 v[6:7], null, v1, s8, 0
	v_lshlrev_b32_e32 v8, 2, v1
	s_delay_alu instid0(VALU_DEP_3)
	v_mad_u64_u32 v[3:4], null, s8, v0, 0
	s_and_b32 s10, s3, 0xffff
	v_cmp_gt_u64_e32 vcc_lo, s[18:19], v[1:2]
	s_lshl_b32 s10, s10, 2
	s_lshr_b32 s24, s3, 16
	s_add_i32 s27, s10, 0
	v_cmp_gt_i64_e64 s3, s[16:17], v[1:2]
	s_delay_alu instid0(VALU_DEP_3) | instskip(SKIP_3) | instid1(VALU_DEP_2)
	v_mad_u64_u32 v[13:14], null, s9, v0, v[4:5]
	v_mad_u64_u32 v[14:15], null, v1, s9, v[7:8]
	s_and_b32 s25, s2, vcc_lo
	v_lshlrev_b32_e32 v5, 2, v5
	v_dual_mov_b32 v7, v14 :: v_dual_mov_b32 v4, v13
	v_add_nc_u32_e32 v15, s27, v8
	v_add_co_u32 v10, s10, s22, v8
	s_delay_alu instid0(VALU_DEP_1) | instskip(NEXT) | instid1(VALU_DEP_4)
	v_add_co_ci_u32_e64 v11, null, s23, 0, s10
	v_lshlrev_b64 v[3:4], 2, v[3:4]
	s_add_u32 s10, s18, -1
	s_addc_u32 s11, s19, -1
	s_add_i32 s26, s27, 4
	v_lshlrev_b64 v[6:7], 2, v[6:7]
	s_add_u32 s4, s14, s4
	s_addc_u32 s5, s15, s5
	v_add_co_u32 v3, vcc_lo, s4, v3
	v_add_co_ci_u32_e32 v4, vcc_lo, s5, v4, vcc_lo
	s_delay_alu instid0(VALU_DEP_3) | instskip(SKIP_1) | instid1(VALU_DEP_4)
	v_add_co_u32 v13, vcc_lo, s22, v6
	v_add_co_ci_u32_e32 v14, vcc_lo, s23, v7, vcc_lo
	v_add_co_u32 v3, vcc_lo, v3, v8
	s_delay_alu instid0(VALU_DEP_4) | instskip(SKIP_1) | instid1(VALU_DEP_2)
	v_add_co_ci_u32_e32 v4, vcc_lo, 0, v4, vcc_lo
	s_mul_i32 s4, s9, s24
	v_add_co_u32 v3, vcc_lo, s20, v3
	s_mul_hi_u32 s5, s8, s24
	v_add_nc_u32_e32 v12, 0, v8
	v_add_co_ci_u32_e32 v4, vcc_lo, s21, v4, vcc_lo
	v_add3_u32 v16, s27, v5, 8
	s_add_i32 s5, s5, s4
	s_mul_i32 s4, s8, s24
	s_lshl_b64 s[16:17], s[8:9], 2
	s_lshl_b64 s[20:21], s[4:5], 2
	s_lshl_b32 s5, s24, 2
	s_mov_b64 s[22:23], 0
	s_mov_b64 s[14:15], 0
	s_branch .LBB7_7
.LBB7_6:                                ;   in Loop: Header=BB7_7 Depth=1
	s_or_b32 exec_lo, exec_lo, s4
	v_add_co_u32 v3, vcc_lo, v3, s16
	s_add_u32 s22, s22, 1
	v_add_co_ci_u32_e32 v4, vcc_lo, s17, v4, vcc_lo
	v_add_nc_u32_e32 v16, 4, v16
	s_addc_u32 s23, s23, 0
	s_delay_alu instid0(SALU_CYCLE_1)
	s_cmp_eq_u64 s[22:23], s[18:19]
	s_cbranch_scc1 .LBB7_26
.LBB7_7:                                ; =>This Loop Header: Depth=1
                                        ;     Child Loop BB7_17 Depth 2
	s_lshl_b32 s27, s22, 2
	s_waitcnt lgkmcnt(0)
	s_add_i32 s4, s27, 0
	s_waitcnt_vscnt null, 0x0
	s_barrier
	v_mov_b32_e32 v5, s4
	buffer_gl0_inv
	s_cmp_eq_u64 s[14:15], 0
	s_cselect_b32 s4, -1, 0
	ds_load_b32 v5, v5
	s_waitcnt lgkmcnt(0)
	v_cmp_eq_f32_e32 vcc_lo, 0, v5
	s_and_b32 s4, vcc_lo, s4
	s_delay_alu instid0(SALU_CYCLE_1)
	s_and_not1_b32 vcc_lo, exec_lo, s4
	s_cbranch_vccz .LBB7_9
; %bb.8:                                ;   in Loop: Header=BB7_7 Depth=1
	v_div_scale_f32 v6, null, v5, v5, 1.0
	s_delay_alu instid0(VALU_DEP_1) | instskip(SKIP_2) | instid1(VALU_DEP_1)
	v_rcp_f32_e32 v7, v6
	s_waitcnt_depctr 0xfff
	v_fma_f32 v8, -v6, v7, 1.0
	v_fmac_f32_e32 v7, v8, v7
	v_div_scale_f32 v8, vcc_lo, 1.0, v5, 1.0
	s_delay_alu instid0(VALU_DEP_1) | instskip(NEXT) | instid1(VALU_DEP_1)
	v_mul_f32_e32 v17, v8, v7
	v_fma_f32 v18, -v6, v17, v8
	s_delay_alu instid0(VALU_DEP_1) | instskip(NEXT) | instid1(VALU_DEP_1)
	v_fmac_f32_e32 v17, v18, v7
	v_fma_f32 v6, -v6, v17, v8
	s_delay_alu instid0(VALU_DEP_1) | instskip(NEXT) | instid1(VALU_DEP_1)
	v_div_fmas_f32 v6, v6, v7, v17
	v_div_fixup_f32 v17, v6, v5, 1.0
	s_cbranch_execz .LBB7_10
	s_branch .LBB7_11
.LBB7_9:                                ;   in Loop: Header=BB7_7 Depth=1
                                        ; implicit-def: $sgpr14_sgpr15
                                        ; implicit-def: $vgpr17
.LBB7_10:                               ;   in Loop: Header=BB7_7 Depth=1
	v_mov_b32_e32 v17, v5
	s_add_u32 s14, s22, 1
	s_addc_u32 s15, s23, 0
.LBB7_11:                               ;   in Loop: Header=BB7_7 Depth=1
	s_mov_b32 s4, exec_lo
	v_cmpx_ne_u64_e64 s[22:23], v[1:2]
	s_cbranch_execnz .LBB7_22
; %bb.12:                               ;   in Loop: Header=BB7_7 Depth=1
	s_or_b32 exec_lo, exec_lo, s4
	s_and_saveexec_b32 s4, s25
	s_cbranch_execz .LBB7_14
.LBB7_13:                               ;   in Loop: Header=BB7_7 Depth=1
	s_lshl_b64 s[28:29], s[22:23], 2
	s_delay_alu instid0(SALU_CYCLE_1)
	v_add_co_u32 v5, vcc_lo, v13, s28
	v_add_co_ci_u32_e32 v6, vcc_lo, s29, v14, vcc_lo
	global_load_b32 v5, v[5:6], off
	s_waitcnt vmcnt(0)
	ds_store_b32 v15, v5
.LBB7_14:                               ;   in Loop: Header=BB7_7 Depth=1
	s_or_b32 exec_lo, exec_lo, s4
	v_cmp_lt_u64_e32 vcc_lo, s[22:23], v[1:2]
	s_waitcnt lgkmcnt(0)
	s_waitcnt_vscnt null, 0x0
	s_barrier
	buffer_gl0_inv
	s_and_b32 s4, s3, vcc_lo
	s_delay_alu instid0(SALU_CYCLE_1)
	s_and_saveexec_b32 s28, s4
	s_cbranch_execz .LBB7_20
; %bb.15:                               ;   in Loop: Header=BB7_7 Depth=1
	v_add_co_u32 v5, s4, s22, v0
	s_delay_alu instid0(VALU_DEP_1) | instskip(SKIP_1) | instid1(VALU_DEP_1)
	v_add_co_ci_u32_e64 v6, null, s23, 0, s4
	s_mov_b32 s29, exec_lo
	v_cmpx_gt_i64_e64 s[18:19], v[5:6]
	s_cbranch_execz .LBB7_18
; %bb.16:                               ;   in Loop: Header=BB7_7 Depth=1
	v_mov_b32_e32 v8, v4
	v_dual_mov_b32 v18, v16 :: v_dual_mov_b32 v7, v3
	s_mov_b32 s30, 0
	.p2align	6
.LBB7_17:                               ;   Parent Loop BB7_7 Depth=1
                                        ; =>  This Inner Loop Header: Depth=2
	global_load_b32 v19, v[7:8], off
	ds_load_b32 v20, v18
	v_add_co_u32 v5, vcc_lo, v5, s24
	v_add_co_ci_u32_e32 v6, vcc_lo, 0, v6, vcc_lo
	v_add_nc_u32_e32 v18, s5, v18
	s_delay_alu instid0(VALU_DEP_2)
	v_cmp_le_i64_e32 vcc_lo, s[18:19], v[5:6]
	s_or_b32 s30, vcc_lo, s30
	s_waitcnt vmcnt(0) lgkmcnt(0)
	v_fma_f32 v19, -v17, v20, v19
	global_store_b32 v[7:8], v19, off
	v_add_co_u32 v7, s4, v7, s20
	s_delay_alu instid0(VALU_DEP_1)
	v_add_co_ci_u32_e64 v8, s4, s21, v8, s4
	s_and_not1_b32 exec_lo, exec_lo, s30
	s_cbranch_execnz .LBB7_17
.LBB7_18:                               ;   in Loop: Header=BB7_7 Depth=1
	s_or_b32 exec_lo, exec_lo, s29
	v_cmp_lt_i64_e64 s4, s[22:23], s[10:11]
	s_delay_alu instid0(VALU_DEP_1) | instskip(NEXT) | instid1(SALU_CYCLE_1)
	s_and_b32 s4, s2, s4
	s_and_b32 exec_lo, exec_lo, s4
	s_cbranch_execz .LBB7_20
; %bb.19:                               ;   in Loop: Header=BB7_7 Depth=1
	s_add_u32 s4, s22, 1
	s_addc_u32 s31, s23, 0
	s_mul_i32 s29, s4, s9
	s_mul_hi_u32 s30, s4, s8
	s_mul_i32 s31, s31, s8
	s_add_i32 s29, s30, s29
	s_mul_i32 s30, s4, s8
	s_add_i32 s31, s29, s31
	s_add_i32 s4, s26, s27
	s_lshl_b64 s[30:31], s[30:31], 2
	v_mov_b32_e32 v8, s4
	v_add_co_u32 v5, vcc_lo, v10, s30
	v_add_co_ci_u32_e32 v6, vcc_lo, s31, v11, vcc_lo
	ds_load_b32 v8, v8
	global_load_b32 v7, v[5:6], off
	s_waitcnt vmcnt(0) lgkmcnt(0)
	v_fma_f32 v7, -v17, v8, v7
	global_store_b32 v[5:6], v7, off
	ds_store_b32 v12, v7
.LBB7_20:                               ;   in Loop: Header=BB7_7 Depth=1
	s_or_b32 exec_lo, exec_lo, s28
	v_cmp_ge_u64_e32 vcc_lo, s[22:23], v[1:2]
	s_and_b32 s27, s2, vcc_lo
	s_delay_alu instid0(SALU_CYCLE_1)
	s_and_saveexec_b32 s4, s27
	s_cbranch_execz .LBB7_6
; %bb.21:                               ;   in Loop: Header=BB7_7 Depth=1
	ds_store_b32 v12, v9
	s_branch .LBB7_6
.LBB7_22:                               ;   in Loop: Header=BB7_7 Depth=1
	ds_load_b32 v5, v12
	v_cmp_le_u64_e32 vcc_lo, s[22:23], v[1:2]
	s_and_b32 s28, s3, vcc_lo
	s_delay_alu instid0(SALU_CYCLE_1)
	s_and_b32 s29, s2, s28
	s_waitcnt lgkmcnt(0)
	v_mul_f32_e32 v17, v17, v5
	s_and_saveexec_b32 s28, s29
	s_cbranch_execz .LBB7_24
; %bb.23:                               ;   in Loop: Header=BB7_7 Depth=1
	s_mul_i32 s29, s22, s9
	s_mul_hi_u32 s30, s22, s8
	s_mul_i32 s31, s23, s8
	s_add_i32 s29, s30, s29
	s_mul_i32 s30, s22, s8
	s_add_i32 s31, s29, s31
	s_delay_alu instid0(SALU_CYCLE_1) | instskip(NEXT) | instid1(SALU_CYCLE_1)
	s_lshl_b64 s[30:31], s[30:31], 2
	v_add_co_u32 v5, vcc_lo, v10, s30
	v_add_co_ci_u32_e32 v6, vcc_lo, s31, v11, vcc_lo
	global_store_b32 v[5:6], v17, off
.LBB7_24:                               ;   in Loop: Header=BB7_7 Depth=1
	s_or_b32 exec_lo, exec_lo, s28
	s_delay_alu instid0(SALU_CYCLE_1)
	s_or_b32 exec_lo, exec_lo, s4
	s_and_saveexec_b32 s4, s25
	s_cbranch_execnz .LBB7_13
	s_branch .LBB7_14
.LBB7_25:
	s_mov_b64 s[14:15], 0
.LBB7_26:
	s_mov_b32 s3, exec_lo
	v_cmpx_eq_u32_e32 0, v1
	s_cbranch_execz .LBB7_29
; %bb.27:
	s_lshl_b64 s[4:5], s[6:7], 3
	v_mov_b32_e32 v0, 0
	s_add_u32 s4, s12, s4
	s_addc_u32 s5, s13, s5
	v_cmp_gt_i64_e64 s3, s[14:15], 0
	global_load_b64 v[1:2], v0, s[4:5]
	s_waitcnt vmcnt(0)
	v_readfirstlane_b32 s6, v1
	v_readfirstlane_b32 s7, v2
	s_delay_alu instid0(VALU_DEP_1) | instskip(SKIP_1) | instid1(SALU_CYCLE_1)
	s_cmp_eq_u64 s[6:7], 0
	s_cselect_b32 s6, -1, 0
	s_and_b32 s3, s6, s3
	s_delay_alu instid0(SALU_CYCLE_1) | instskip(NEXT) | instid1(SALU_CYCLE_1)
	s_and_b32 s2, s2, s3
	s_and_b32 exec_lo, exec_lo, s2
	s_cbranch_execz .LBB7_29
; %bb.28:
	s_load_b64 s[0:1], s[0:1], 0x40
	s_waitcnt lgkmcnt(0)
	s_add_u32 s0, s14, s0
	s_addc_u32 s1, s15, s1
	s_delay_alu instid0(SALU_CYCLE_1)
	v_dual_mov_b32 v2, s1 :: v_dual_mov_b32 v1, s0
	global_store_b64 v0, v[1:2], s[4:5]
.LBB7_29:
	s_nop 0
	s_sendmsg sendmsg(MSG_DEALLOC_VGPRS)
	s_endpgm
	.section	.rodata,"a",@progbits
	.p2align	6, 0x0
	.amdhsa_kernel _ZN9rocsolver6v33100L23getf2_npvt_panel_kernelIfllPfEEvT0_S3_T2_lS3_lPT1_S3_S3_
		.amdhsa_group_segment_fixed_size 0
		.amdhsa_private_segment_fixed_size 0
		.amdhsa_kernarg_size 328
		.amdhsa_user_sgpr_count 14
		.amdhsa_user_sgpr_dispatch_ptr 0
		.amdhsa_user_sgpr_queue_ptr 0
		.amdhsa_user_sgpr_kernarg_segment_ptr 1
		.amdhsa_user_sgpr_dispatch_id 0
		.amdhsa_user_sgpr_private_segment_size 0
		.amdhsa_wavefront_size32 1
		.amdhsa_uses_dynamic_stack 0
		.amdhsa_enable_private_segment 0
		.amdhsa_system_sgpr_workgroup_id_x 1
		.amdhsa_system_sgpr_workgroup_id_y 0
		.amdhsa_system_sgpr_workgroup_id_z 1
		.amdhsa_system_sgpr_workgroup_info 0
		.amdhsa_system_vgpr_workitem_id 1
		.amdhsa_next_free_vgpr 21
		.amdhsa_next_free_sgpr 32
		.amdhsa_reserve_vcc 1
		.amdhsa_float_round_mode_32 0
		.amdhsa_float_round_mode_16_64 0
		.amdhsa_float_denorm_mode_32 3
		.amdhsa_float_denorm_mode_16_64 3
		.amdhsa_dx10_clamp 1
		.amdhsa_ieee_mode 1
		.amdhsa_fp16_overflow 0
		.amdhsa_workgroup_processor_mode 1
		.amdhsa_memory_ordered 1
		.amdhsa_forward_progress 0
		.amdhsa_shared_vgpr_count 0
		.amdhsa_exception_fp_ieee_invalid_op 0
		.amdhsa_exception_fp_denorm_src 0
		.amdhsa_exception_fp_ieee_div_zero 0
		.amdhsa_exception_fp_ieee_overflow 0
		.amdhsa_exception_fp_ieee_underflow 0
		.amdhsa_exception_fp_ieee_inexact 0
		.amdhsa_exception_int_div_zero 0
	.end_amdhsa_kernel
	.section	.text._ZN9rocsolver6v33100L23getf2_npvt_panel_kernelIfllPfEEvT0_S3_T2_lS3_lPT1_S3_S3_,"axG",@progbits,_ZN9rocsolver6v33100L23getf2_npvt_panel_kernelIfllPfEEvT0_S3_T2_lS3_lPT1_S3_S3_,comdat
.Lfunc_end7:
	.size	_ZN9rocsolver6v33100L23getf2_npvt_panel_kernelIfllPfEEvT0_S3_T2_lS3_lPT1_S3_S3_, .Lfunc_end7-_ZN9rocsolver6v33100L23getf2_npvt_panel_kernelIfllPfEEvT0_S3_T2_lS3_lPT1_S3_S3_
                                        ; -- End function
	.section	.AMDGPU.csdata,"",@progbits
; Kernel info:
; codeLenInByte = 1376
; NumSgprs: 34
; NumVgprs: 21
; ScratchSize: 0
; MemoryBound: 0
; FloatMode: 240
; IeeeMode: 1
; LDSByteSize: 0 bytes/workgroup (compile time only)
; SGPRBlocks: 4
; VGPRBlocks: 2
; NumSGPRsForWavesPerEU: 34
; NumVGPRsForWavesPerEU: 21
; Occupancy: 16
; WaveLimiterHint : 0
; COMPUTE_PGM_RSRC2:SCRATCH_EN: 0
; COMPUTE_PGM_RSRC2:USER_SGPR: 14
; COMPUTE_PGM_RSRC2:TRAP_HANDLER: 0
; COMPUTE_PGM_RSRC2:TGID_X_EN: 1
; COMPUTE_PGM_RSRC2:TGID_Y_EN: 0
; COMPUTE_PGM_RSRC2:TGID_Z_EN: 1
; COMPUTE_PGM_RSRC2:TIDIG_COMP_CNT: 1
	.section	.text._ZN9rocsolver6v33100L18getf2_panel_kernelIfllPKPfEEvT0_S5_T2_lS5_lPS5_llPT1_S5_S5_S7_l,"axG",@progbits,_ZN9rocsolver6v33100L18getf2_panel_kernelIfllPKPfEEvT0_S5_T2_lS5_lPS5_llPT1_S5_S5_S7_l,comdat
	.globl	_ZN9rocsolver6v33100L18getf2_panel_kernelIfllPKPfEEvT0_S5_T2_lS5_lPS5_llPT1_S5_S5_S7_l ; -- Begin function _ZN9rocsolver6v33100L18getf2_panel_kernelIfllPKPfEEvT0_S5_T2_lS5_lPS5_llPT1_S5_S5_S7_l
	.p2align	8
	.type	_ZN9rocsolver6v33100L18getf2_panel_kernelIfllPKPfEEvT0_S5_T2_lS5_lPS5_llPT1_S5_S5_S7_l,@function
_ZN9rocsolver6v33100L18getf2_panel_kernelIfllPKPfEEvT0_S5_T2_lS5_lPS5_llPT1_S5_S5_S7_l: ; @_ZN9rocsolver6v33100L18getf2_panel_kernelIfllPKPfEEvT0_S5_T2_lS5_lPS5_llPT1_S5_S5_S7_l
; %bb.0:
	s_clause 0x1
	s_load_b256 s[4:11], s[0:1], 0x0
	s_load_b128 s[16:19], s[0:1], 0x58
	s_mov_b32 s34, s15
	s_mov_b32 s35, 0
	s_load_b64 s[22:23], s[0:1], 0x20
	s_lshl_b64 s[20:21], s[34:35], 3
	s_mov_b64 s[24:25], 0
	s_waitcnt lgkmcnt(0)
	s_add_u32 s8, s8, s20
	s_addc_u32 s9, s9, s21
	s_clause 0x1
	s_load_b64 s[2:3], s[0:1], 0x68
	s_load_b32 s37, s[0:1], 0x7c
	s_load_b64 s[26:27], s[8:9], 0x0
	s_cmp_eq_u64 s[18:19], 0
	s_cselect_b32 s33, -1, 0
	s_delay_alu instid0(SALU_CYCLE_1)
	s_and_b32 vcc_lo, exec_lo, s33
	s_cbranch_vccnz .LBB8_2
; %bb.1:
	s_waitcnt lgkmcnt(0)
	s_mul_i32 s3, s34, s3
	s_mul_hi_u32 s8, s34, s2
	s_mul_i32 s2, s34, s2
	s_add_i32 s3, s8, s3
	s_delay_alu instid0(SALU_CYCLE_1) | instskip(NEXT) | instid1(SALU_CYCLE_1)
	s_lshl_b64 s[2:3], s[2:3], 3
	s_add_u32 s24, s18, s2
	s_addc_u32 s25, s19, s3
.LBB8_2:
	s_lshl_b64 s[28:29], s[10:11], 2
	v_bfe_u32 v7, v0, 10, 10
	s_waitcnt lgkmcnt(0)
	s_and_b32 s3, s37, 0xffff
	s_add_u32 s30, s26, s28
	s_addc_u32 s31, s27, s29
	s_lshl_b32 s8, s3, 2
	s_lshl_b32 s9, s6, 2
	s_add_i32 s35, s8, 8
	v_dual_mov_b32 v2, 0 :: v_dual_and_b32 v1, 0x3ff, v0
	v_cmp_eq_u32_e64 s2, 0, v7
	s_add_i32 s36, s35, s9
                                        ; implicit-def: $vgpr0
	s_delay_alu instid0(SALU_CYCLE_1) | instskip(NEXT) | instid1(VALU_DEP_1)
	s_add_i32 s46, s36, s8
	s_and_saveexec_b32 s8, s2
	s_cbranch_execz .LBB8_6
; %bb.3:
	v_mov_b32_e32 v3, v2
	s_mov_b32 s9, exec_lo
	v_cmpx_gt_i64_e64 s[4:5], v[1:2]
	s_cbranch_execz .LBB8_5
; %bb.4:
	v_lshlrev_b32_e32 v0, 2, v1
	global_load_b32 v3, v0, s[30:31]
.LBB8_5:
	s_or_b32 exec_lo, exec_lo, s9
	v_lshlrev_b32_e32 v4, 2, v1
	s_waitcnt vmcnt(0)
	v_and_b32_e32 v0, 0x7fffffff, v3
	v_lshl_add_u32 v6, v1, 3, s46
	s_delay_alu instid0(VALU_DEP_3)
	v_add_nc_u32_e32 v5, 8, v4
	v_add_nc_u32_e32 v4, s36, v4
	ds_store_b32 v5, v3
	ds_store_b32 v4, v0
	ds_store_b64 v6, v[1:2]
.LBB8_6:
	s_or_b32 exec_lo, exec_lo, s8
	s_load_b256 s[8:15], s[0:1], 0x30
	v_cmp_lt_i64_e64 s0, s[6:7], 1
	s_delay_alu instid0(VALU_DEP_1)
	s_and_b32 vcc_lo, exec_lo, s0
	s_cbranch_vccnz .LBB8_47
; %bb.7:
	v_add_nc_u32_e32 v14, 2, v7
	v_mad_u64_u32 v[3:4], null, v1, s22, 0
	s_waitcnt lgkmcnt(0)
	s_mul_i32 s0, s34, s13
	s_mul_hi_u32 s1, s34, s12
	v_mad_u64_u32 v[5:6], null, s22, v14, 0
	s_add_i32 s1, s1, s0
	s_mul_i32 s0, s34, s12
	s_lshr_b32 s37, s37, 16
	s_lshl_b64 s[0:1], s[0:1], 3
	v_dual_mov_b32 v11, 0 :: v_dual_lshlrev_b32 v10, 2, v1
	s_delay_alu instid0(VALU_DEP_2)
	v_mad_u64_u32 v[8:9], null, v1, s23, v[4:5]
	v_or_b32_e32 v4, v1, v7
	s_add_u32 s8, s8, s0
	s_addc_u32 s9, s9, s1
	s_lshl_b64 s[0:1], s[10:11], 3
	v_lshlrev_b32_e32 v21, 3, v1
	s_add_u32 s38, s8, s0
	v_cmp_eq_u32_e64 s0, 0, v4
	v_mov_b32_e32 v4, v8
	v_mad_u64_u32 v[8:9], null, s23, v14, v[6:7]
	v_cmp_gt_u64_e32 vcc_lo, s[6:7], v[1:2]
	s_addc_u32 s39, s9, s1
	s_delay_alu instid0(VALU_DEP_3) | instskip(SKIP_2) | instid1(VALU_DEP_3)
	v_lshlrev_b64 v[3:4], 2, v[3:4]
	s_lshr_b32 s18, s3, 1
	s_cmp_gt_u32 s3, 1
	v_dual_mov_b32 v6, v8 :: v_dual_add_nc_u32 v15, s36, v10
	s_cselect_b32 s40, -1, 0
	s_add_u32 s41, s16, 1
	s_addc_u32 s42, s17, 0
	s_and_b32 s43, s2, vcc_lo
	v_add_co_u32 v18, vcc_lo, s30, v3
	v_add_co_ci_u32_e32 v19, vcc_lo, s31, v4, vcc_lo
	v_lshlrev_b64 v[3:4], 2, v[5:6]
	v_lshlrev_b32_e32 v7, 2, v7
	v_cmp_gt_i64_e64 s1, s[4:5], v[1:2]
	v_cmp_le_i64_e64 s3, s[4:5], v[1:2]
	v_add_co_u32 v12, s10, s30, v10
	v_add_co_u32 v5, vcc_lo, v3, s28
	v_add_co_ci_u32_e32 v6, vcc_lo, s29, v4, vcc_lo
	v_add_co_u32 v3, s4, s24, v21
	s_delay_alu instid0(VALU_DEP_3) | instskip(NEXT) | instid1(VALU_DEP_3)
	v_add_co_u32 v5, vcc_lo, v5, v10
	v_add_co_ci_u32_e32 v6, vcc_lo, 0, v6, vcc_lo
	v_add_co_ci_u32_e64 v4, null, s25, 0, s4
	s_delay_alu instid0(VALU_DEP_3)
	v_add_co_u32 v5, vcc_lo, s26, v5
	s_mul_i32 s4, s23, s37
	s_mul_hi_u32 s5, s22, s37
	v_add_co_ci_u32_e64 v13, null, s31, 0, s10
	v_add_nc_u32_e32 v16, s46, v21
	v_dual_mov_b32 v22, s46 :: v_dual_add_nc_u32 v17, 8, v10
	v_add_nc_u32_e32 v20, s35, v10
	s_add_u32 s10, s6, -1
	v_add_co_ci_u32_e32 v6, vcc_lo, s27, v6, vcc_lo
	v_add3_u32 v21, s35, v7, 8
	s_addc_u32 s11, s7, -1
	s_add_i32 s5, s5, s4
	s_mul_i32 s4, s22, s37
	s_mov_b32 s19, 0
	s_add_i32 s44, s35, 4
	s_lshl_b64 s[12:13], s[22:23], 2
	s_lshl_b64 s[26:27], s[4:5], 2
	s_lshl_b32 s45, s37, 2
	s_mov_b64 s[28:29], 0
	s_mov_b64 s[30:31], src_shared_base
	s_mov_b64 s[8:9], 0
	s_branch .LBB8_9
.LBB8_8:                                ;   in Loop: Header=BB8_9 Depth=1
	s_or_b32 exec_lo, exec_lo, s4
	v_add_co_u32 v5, vcc_lo, v5, s12
	s_add_u32 s28, s28, 1
	v_add_co_ci_u32_e32 v6, vcc_lo, s13, v6, vcc_lo
	v_add_nc_u32_e32 v21, 4, v21
	s_addc_u32 s29, s29, 0
	s_delay_alu instid0(SALU_CYCLE_1)
	s_cmp_eq_u64 s[28:29], s[6:7]
	s_cbranch_scc1 .LBB8_48
.LBB8_9:                                ; =>This Loop Header: Depth=1
                                        ;     Child Loop BB8_33 Depth 2
                                        ;     Child Loop BB8_40 Depth 2
	v_dual_mov_b32 v8, v2 :: v_dual_mov_b32 v7, v1
	s_and_not1_b32 vcc_lo, exec_lo, s40
	s_mov_b64 s[34:35], s[18:19]
	s_waitcnt lgkmcnt(0)
	s_waitcnt_vscnt null, 0x0
	s_barrier
	buffer_gl0_inv
	s_cbranch_vccz .LBB8_33
.LBB8_10:                               ;   in Loop: Header=BB8_9 Depth=1
	ds_load_b64 v[8:9], v22
	s_waitcnt lgkmcnt(0)
	v_lshlrev_b32_e32 v7, 2, v8
	v_readfirstlane_b32 s34, v8
	v_readfirstlane_b32 s35, v9
	s_delay_alu instid0(VALU_DEP_3)
	v_add_nc_u32_e32 v7, 8, v7
	ds_load_b32 v7, v7
	s_waitcnt lgkmcnt(0)
	v_cmp_neq_f32_e32 vcc_lo, 0, v7
	s_cbranch_vccz .LBB8_46
; %bb.11:                               ;   in Loop: Header=BB8_9 Depth=1
	v_div_scale_f32 v8, null, v7, v7, 1.0
	s_delay_alu instid0(VALU_DEP_1) | instskip(SKIP_2) | instid1(VALU_DEP_1)
	v_rcp_f32_e32 v9, v8
	s_waitcnt_depctr 0xfff
	v_fma_f32 v10, -v8, v9, 1.0
	v_fmac_f32_e32 v9, v10, v9
	v_div_scale_f32 v10, vcc_lo, 1.0, v7, 1.0
	s_delay_alu instid0(VALU_DEP_1) | instskip(NEXT) | instid1(VALU_DEP_1)
	v_mul_f32_e32 v23, v10, v9
	v_fma_f32 v24, -v8, v23, v10
	s_delay_alu instid0(VALU_DEP_1) | instskip(NEXT) | instid1(VALU_DEP_1)
	v_fmac_f32_e32 v23, v24, v9
	v_fma_f32 v8, -v8, v23, v10
	s_delay_alu instid0(VALU_DEP_1) | instskip(NEXT) | instid1(VALU_DEP_1)
	v_div_fmas_f32 v8, v8, v9, v23
	v_div_fixup_f32 v23, v8, v7, 1.0
	s_cbranch_execnz .LBB8_13
.LBB8_12:                               ;   in Loop: Header=BB8_9 Depth=1
	s_add_u32 s4, s28, 1
	s_addc_u32 s5, s29, 0
	v_mov_b32_e32 v23, v7
	s_cmp_eq_u64 s[8:9], 0
	s_mov_b64 s[34:35], s[28:29]
	s_cselect_b32 s9, s5, s9
	s_cselect_b32 s8, s4, s8
.LBB8_13:                               ;   in Loop: Header=BB8_9 Depth=1
	s_and_saveexec_b32 s4, s0
	s_cbranch_execz .LBB8_15
; %bb.14:                               ;   in Loop: Header=BB8_9 Depth=1
	s_lshl_b64 s[46:47], s[28:29], 3
	s_delay_alu instid0(SALU_CYCLE_1) | instskip(SKIP_3) | instid1(SALU_CYCLE_1)
	s_add_u32 s46, s38, s46
	s_addc_u32 s47, s39, s47
	s_add_u32 s48, s41, s34
	s_addc_u32 s49, s42, s35
	v_dual_mov_b32 v7, s48 :: v_dual_mov_b32 v8, s49
	global_store_b64 v11, v[7:8], s[46:47]
.LBB8_15:                               ;   in Loop: Header=BB8_9 Depth=1
	s_or_b32 exec_lo, exec_lo, s4
	v_cmp_eq_u64_e32 vcc_lo, s[34:35], v[1:2]
	s_mov_b32 s5, exec_lo
	v_cmpx_ne_u64_e64 s[34:35], v[1:2]
	s_cbranch_execz .LBB8_19
; %bb.16:                               ;   in Loop: Header=BB8_9 Depth=1
	ds_load_b32 v7, v17
	v_cmp_le_u64_e64 s4, s[28:29], v[1:2]
	s_delay_alu instid0(VALU_DEP_1) | instskip(NEXT) | instid1(SALU_CYCLE_1)
	s_and_b32 s4, s1, s4
	s_and_b32 s4, s2, s4
	s_waitcnt lgkmcnt(0)
	v_mul_f32_e32 v23, v23, v7
	s_and_saveexec_b32 s30, s4
	s_cbranch_execz .LBB8_18
; %bb.17:                               ;   in Loop: Header=BB8_9 Depth=1
	s_mul_i32 s4, s28, s23
	s_mul_hi_u32 s46, s28, s22
	s_mul_i32 s47, s29, s22
	s_add_i32 s4, s46, s4
	s_mul_i32 s46, s28, s22
	s_add_i32 s47, s4, s47
	s_delay_alu instid0(SALU_CYCLE_1) | instskip(NEXT) | instid1(SALU_CYCLE_1)
	s_lshl_b64 s[46:47], s[46:47], 2
	v_add_co_u32 v7, s4, v12, s46
	s_delay_alu instid0(VALU_DEP_1)
	v_add_co_ci_u32_e64 v8, s4, s47, v13, s4
	global_store_b32 v[7:8], v23, off
.LBB8_18:                               ;   in Loop: Header=BB8_9 Depth=1
	s_or_b32 exec_lo, exec_lo, s30
.LBB8_19:                               ;   in Loop: Header=BB8_9 Depth=1
	s_delay_alu instid0(SALU_CYCLE_1)
	s_or_b32 exec_lo, exec_lo, s5
	s_and_saveexec_b32 s5, s43
	s_cbranch_execz .LBB8_22
; %bb.20:                               ;   in Loop: Header=BB8_9 Depth=1
	s_lshl_b64 s[46:47], s[34:35], 2
	s_delay_alu instid0(SALU_CYCLE_1) | instskip(NEXT) | instid1(VALU_DEP_1)
	v_add_co_u32 v7, s4, v18, s46
	v_add_co_ci_u32_e64 v8, s4, s47, v19, s4
	v_cmp_eq_u64_e64 s4, s[28:29], v[1:2]
	global_load_b32 v7, v[7:8], off
	s_waitcnt vmcnt(0)
	ds_store_b32 v20, v7
	s_and_b32 exec_lo, exec_lo, s4
	s_cbranch_execz .LBB8_22
; %bb.21:                               ;   in Loop: Header=BB8_9 Depth=1
	ds_store_b32 v11, v23
.LBB8_22:                               ;   in Loop: Header=BB8_9 Depth=1
	s_or_b32 exec_lo, exec_lo, s5
	s_cmp_lg_u64 s[34:35], s[28:29]
	s_waitcnt lgkmcnt(0)
	s_waitcnt_vscnt null, 0x0
	s_cselect_b32 s4, -1, 0
	s_barrier
	s_and_b32 s4, s43, s4
	buffer_gl0_inv
	s_and_saveexec_b32 s30, s4
	s_cbranch_execz .LBB8_28
; %bb.23:                               ;   in Loop: Header=BB8_9 Depth=1
	s_lshl_b64 s[4:5], s[28:29], 2
	s_lshl_b64 s[46:47], s[34:35], 2
	v_add_co_u32 v8, s4, v18, s4
	s_delay_alu instid0(VALU_DEP_1) | instskip(SKIP_4) | instid1(VALU_DEP_2)
	v_add_co_ci_u32_e64 v9, s4, s5, v19, s4
	v_cmp_ne_u64_e64 s4, s[28:29], v[1:2]
	v_cmp_lt_u64_e64 s5, s[28:29], v[1:2]
	s_add_u32 s48, s28, 1
	s_addc_u32 s49, s29, 0
	v_cndmask_b32_e64 v25, s31, v9, s4
	v_cndmask_b32_e64 v24, 0, v8, s4
	flat_load_b32 v7, v[24:25]
	ds_load_b32 v10, v20
	ds_load_b32 v24, v11
	s_waitcnt lgkmcnt(0)
	v_mul_f32_e32 v24, v24, v10
	s_delay_alu instid0(VALU_DEP_1) | instskip(SKIP_1) | instid1(VALU_DEP_1)
	v_cndmask_b32_e64 v26, 0, v24, s5
	v_add_co_u32 v24, s5, v18, s46
	v_add_co_ci_u32_e64 v25, s5, s47, v19, s5
	s_mov_b32 s46, exec_lo
	s_waitcnt vmcnt(0)
	v_sub_f32_e32 v7, v7, v26
	s_clause 0x1
	global_store_b32 v[24:25], v7, off
	global_store_b32 v[8:9], v10, off
	v_cmpx_eq_u64_e64 s[48:49], v[1:2]
	s_cbranch_execz .LBB8_25
; %bb.24:                               ;   in Loop: Header=BB8_9 Depth=1
	s_lshl_b32 s5, s34, 2
	s_delay_alu instid0(SALU_CYCLE_1) | instskip(SKIP_1) | instid1(SALU_CYCLE_1)
	s_add_i32 s47, s5, 8
	s_add_i32 s5, s36, s5
	v_dual_mov_b32 v9, s5 :: v_dual_and_b32 v0, 0x7fffffff, v7
	v_mov_b32_e32 v8, s47
	ds_store_b32 v8, v7
	ds_store_b32 v9, v0
.LBB8_25:                               ;   in Loop: Header=BB8_9 Depth=1
	s_or_b32 exec_lo, exec_lo, s46
	s_or_b32 s4, s33, s4
	s_delay_alu instid0(SALU_CYCLE_1) | instskip(NEXT) | instid1(SALU_CYCLE_1)
	s_xor_b32 s5, s4, -1
	s_and_saveexec_b32 s4, s5
	s_cbranch_execz .LBB8_27
; %bb.26:                               ;   in Loop: Header=BB8_9 Depth=1
	s_lshl_b64 s[34:35], s[34:35], 3
	s_delay_alu instid0(SALU_CYCLE_1) | instskip(SKIP_1) | instid1(SALU_CYCLE_1)
	s_add_u32 s34, s24, s34
	s_addc_u32 s35, s25, s35
	v_dual_mov_b32 v7, s34 :: v_dual_mov_b32 v8, s35
	s_clause 0x1
	flat_load_b64 v[9:10], v[7:8]
	flat_load_b64 v[24:25], v[3:4]
	s_waitcnt vmcnt(1) lgkmcnt(1)
	flat_store_b64 v[3:4], v[9:10]
	s_waitcnt vmcnt(0) lgkmcnt(1)
	flat_store_b64 v[7:8], v[24:25]
.LBB8_27:                               ;   in Loop: Header=BB8_9 Depth=1
	s_or_b32 exec_lo, exec_lo, s4
.LBB8_28:                               ;   in Loop: Header=BB8_9 Depth=1
	s_delay_alu instid0(SALU_CYCLE_1) | instskip(SKIP_1) | instid1(VALU_DEP_1)
	s_or_b32 exec_lo, exec_lo, s30
	v_cmp_ge_u64_e64 s4, s[28:29], v[1:2]
	s_or_b32 s5, s3, s4
	s_delay_alu instid0(SALU_CYCLE_1) | instskip(NEXT) | instid1(SALU_CYCLE_1)
	s_or_b32 s5, s5, vcc_lo
	s_xor_b32 s5, s5, -1
	s_delay_alu instid0(SALU_CYCLE_1)
	s_and_saveexec_b32 s30, s5
	s_cbranch_execnz .LBB8_38
; %bb.29:                               ;   in Loop: Header=BB8_9 Depth=1
	s_or_b32 exec_lo, exec_lo, s30
	s_and_b32 s5, s2, s4
	s_delay_alu instid0(SALU_CYCLE_1)
	s_and_saveexec_b32 s4, s5
	s_cbranch_execnz .LBB8_44
.LBB8_30:                               ;   in Loop: Header=BB8_9 Depth=1
	s_or_b32 exec_lo, exec_lo, s4
	s_and_saveexec_b32 s4, s2
	s_cbranch_execz .LBB8_8
	s_branch .LBB8_45
	.p2align	6
.LBB8_31:                               ;   in Loop: Header=BB8_33 Depth=2
	s_or_b32 exec_lo, exec_lo, s4
.LBB8_32:                               ;   in Loop: Header=BB8_33 Depth=2
	s_delay_alu instid0(SALU_CYCLE_1)
	s_or_b32 exec_lo, exec_lo, s5
	v_cmp_lt_u64_e64 s4, s[34:35], 2
	s_lshr_b64 s[34:35], s[34:35], 1
	s_waitcnt lgkmcnt(0)
	s_barrier
	buffer_gl0_inv
	s_and_b32 vcc_lo, exec_lo, s4
	s_cbranch_vccnz .LBB8_10
.LBB8_33:                               ;   Parent Loop BB8_9 Depth=1
                                        ; =>  This Inner Loop Header: Depth=2
	v_cmp_gt_u64_e32 vcc_lo, s[34:35], v[1:2]
	s_and_b32 s4, s2, vcc_lo
	s_delay_alu instid0(SALU_CYCLE_1)
	s_and_saveexec_b32 s5, s4
	s_cbranch_execz .LBB8_32
; %bb.34:                               ;   in Loop: Header=BB8_33 Depth=2
	v_lshl_add_u32 v9, s34, 2, v15
	s_mov_b32 s46, exec_lo
	ds_load_b32 v23, v9
	v_lshl_add_u32 v9, s34, 3, v16
	ds_load_b64 v[9:10], v9
	s_waitcnt lgkmcnt(1)
	v_cmp_lt_f32_e64 s30, v0, v23
	v_cmpx_nlt_f32_e32 v0, v23
	s_cbranch_execz .LBB8_36
; %bb.35:                               ;   in Loop: Header=BB8_33 Depth=2
	s_waitcnt lgkmcnt(0)
	v_cmp_gt_i64_e32 vcc_lo, v[7:8], v[9:10]
	v_cmp_eq_f32_e64 s4, v0, v23
	s_and_not1_b32 s30, s30, exec_lo
	s_delay_alu instid0(VALU_DEP_1) | instskip(NEXT) | instid1(SALU_CYCLE_1)
	s_and_b32 s4, s4, vcc_lo
	s_and_b32 s4, s4, exec_lo
	s_delay_alu instid0(SALU_CYCLE_1)
	s_or_b32 s30, s30, s4
.LBB8_36:                               ;   in Loop: Header=BB8_33 Depth=2
	s_or_b32 exec_lo, exec_lo, s46
	s_delay_alu instid0(VALU_DEP_2)
	s_and_saveexec_b32 s4, s30
	s_cbranch_execz .LBB8_31
; %bb.37:                               ;   in Loop: Header=BB8_33 Depth=2
	s_waitcnt lgkmcnt(0)
	v_dual_mov_b32 v0, v23 :: v_dual_mov_b32 v7, v9
	v_mov_b32_e32 v8, v10
	ds_store_b32 v15, v23
	ds_store_b64 v16, v[9:10]
	s_branch .LBB8_31
.LBB8_38:                               ;   in Loop: Header=BB8_9 Depth=1
	v_add_co_u32 v7, s5, s28, v14
	s_delay_alu instid0(VALU_DEP_1) | instskip(SKIP_1) | instid1(VALU_DEP_1)
	v_add_co_ci_u32_e64 v8, null, s29, 0, s5
	s_mov_b32 s34, exec_lo
	v_cmpx_gt_i64_e64 s[6:7], v[7:8]
	s_cbranch_execz .LBB8_41
; %bb.39:                               ;   in Loop: Header=BB8_9 Depth=1
	v_mov_b32_e32 v24, v21
	v_dual_mov_b32 v10, v6 :: v_dual_mov_b32 v9, v5
	s_mov_b32 s35, 0
	.p2align	6
.LBB8_40:                               ;   Parent Loop BB8_9 Depth=1
                                        ; =>  This Inner Loop Header: Depth=2
	global_load_b32 v25, v[9:10], off
	ds_load_b32 v26, v24
	v_add_co_u32 v7, vcc_lo, v7, s37
	v_add_co_ci_u32_e32 v8, vcc_lo, 0, v8, vcc_lo
	v_add_nc_u32_e32 v24, s45, v24
	s_delay_alu instid0(VALU_DEP_2)
	v_cmp_le_i64_e32 vcc_lo, s[6:7], v[7:8]
	s_or_b32 s35, vcc_lo, s35
	s_waitcnt vmcnt(0) lgkmcnt(0)
	v_fma_f32 v25, -v23, v26, v25
	global_store_b32 v[9:10], v25, off
	v_add_co_u32 v9, s5, v9, s26
	s_delay_alu instid0(VALU_DEP_1)
	v_add_co_ci_u32_e64 v10, s5, s27, v10, s5
	s_and_not1_b32 exec_lo, exec_lo, s35
	s_cbranch_execnz .LBB8_40
.LBB8_41:                               ;   in Loop: Header=BB8_9 Depth=1
	s_or_b32 exec_lo, exec_lo, s34
	v_cmp_lt_i64_e64 s5, s[28:29], s[10:11]
	s_delay_alu instid0(VALU_DEP_1) | instskip(NEXT) | instid1(SALU_CYCLE_1)
	s_and_b32 s34, s2, s5
	s_and_saveexec_b32 s5, s34
	s_cbranch_execz .LBB8_43
; %bb.42:                               ;   in Loop: Header=BB8_9 Depth=1
	s_add_u32 s34, s28, 1
	s_addc_u32 s47, s29, 0
	s_mul_i32 s35, s34, s23
	s_mul_hi_u32 s46, s34, s22
	s_mul_i32 s47, s47, s22
	s_add_i32 s35, s46, s35
	s_mul_i32 s34, s34, s22
	s_add_i32 s35, s35, s47
	s_delay_alu instid0(SALU_CYCLE_1) | instskip(NEXT) | instid1(SALU_CYCLE_1)
	s_lshl_b64 s[34:35], s[34:35], 2
	v_add_co_u32 v7, vcc_lo, v12, s34
	v_add_co_ci_u32_e32 v8, vcc_lo, s35, v13, vcc_lo
	s_lshl_b32 s34, s28, 2
	s_delay_alu instid0(SALU_CYCLE_1)
	s_add_i32 s34, s44, s34
	global_load_b32 v0, v[7:8], off
	v_mov_b32_e32 v9, s34
	ds_load_b32 v9, v9
	s_waitcnt vmcnt(0) lgkmcnt(0)
	v_fma_f32 v9, -v23, v9, v0
	s_delay_alu instid0(VALU_DEP_1)
	v_and_b32_e32 v0, 0x7fffffff, v9
	global_store_b32 v[7:8], v9, off
	ds_store_b32 v17, v9
	ds_store_b32 v15, v0
.LBB8_43:                               ;   in Loop: Header=BB8_9 Depth=1
	s_or_b32 exec_lo, exec_lo, s5
	s_delay_alu instid0(SALU_CYCLE_1) | instskip(SKIP_1) | instid1(SALU_CYCLE_1)
	s_or_b32 exec_lo, exec_lo, s30
	s_and_b32 s5, s2, s4
	s_and_saveexec_b32 s4, s5
	s_cbranch_execz .LBB8_30
.LBB8_44:                               ;   in Loop: Header=BB8_9 Depth=1
	v_mov_b32_e32 v0, 0
	ds_store_b32 v17, v11
	ds_store_b32 v15, v11
	s_or_b32 exec_lo, exec_lo, s4
	s_and_saveexec_b32 s4, s2
	s_cbranch_execz .LBB8_8
.LBB8_45:                               ;   in Loop: Header=BB8_9 Depth=1
	ds_store_b64 v16, v[1:2]
	s_branch .LBB8_8
.LBB8_46:                               ;   in Loop: Header=BB8_9 Depth=1
                                        ; implicit-def: $sgpr34_sgpr35
                                        ; implicit-def: $vgpr23
	s_branch .LBB8_12
.LBB8_47:
	s_waitcnt lgkmcnt(0)
	s_mov_b64 s[8:9], 0
.LBB8_48:
	s_mov_b32 s0, exec_lo
	v_cmpx_eq_u32_e32 0, v1
	s_cbranch_execz .LBB8_51
; %bb.49:
	v_mov_b32_e32 v0, 0
	s_add_u32 s0, s14, s20
	s_addc_u32 s1, s15, s21
	v_cmp_gt_i64_e64 s3, s[8:9], 0
	global_load_b64 v[1:2], v0, s[0:1]
	s_waitcnt vmcnt(0)
	v_readfirstlane_b32 s4, v1
	v_readfirstlane_b32 s5, v2
	s_delay_alu instid0(VALU_DEP_1) | instskip(SKIP_1) | instid1(SALU_CYCLE_1)
	s_cmp_eq_u64 s[4:5], 0
	s_cselect_b32 s4, -1, 0
	s_and_b32 s3, s4, s3
	s_delay_alu instid0(SALU_CYCLE_1) | instskip(NEXT) | instid1(SALU_CYCLE_1)
	s_and_b32 s2, s2, s3
	s_and_b32 exec_lo, exec_lo, s2
	s_cbranch_execz .LBB8_51
; %bb.50:
	s_add_u32 s2, s8, s16
	s_addc_u32 s3, s9, s17
	s_delay_alu instid0(SALU_CYCLE_1)
	v_dual_mov_b32 v1, s2 :: v_dual_mov_b32 v2, s3
	global_store_b64 v0, v[1:2], s[0:1]
.LBB8_51:
	s_endpgm
	.section	.rodata,"a",@progbits
	.p2align	6, 0x0
	.amdhsa_kernel _ZN9rocsolver6v33100L18getf2_panel_kernelIfllPKPfEEvT0_S5_T2_lS5_lPS5_llPT1_S5_S5_S7_l
		.amdhsa_group_segment_fixed_size 8
		.amdhsa_private_segment_fixed_size 0
		.amdhsa_kernarg_size 368
		.amdhsa_user_sgpr_count 14
		.amdhsa_user_sgpr_dispatch_ptr 0
		.amdhsa_user_sgpr_queue_ptr 0
		.amdhsa_user_sgpr_kernarg_segment_ptr 1
		.amdhsa_user_sgpr_dispatch_id 0
		.amdhsa_user_sgpr_private_segment_size 0
		.amdhsa_wavefront_size32 1
		.amdhsa_uses_dynamic_stack 0
		.amdhsa_enable_private_segment 0
		.amdhsa_system_sgpr_workgroup_id_x 1
		.amdhsa_system_sgpr_workgroup_id_y 0
		.amdhsa_system_sgpr_workgroup_id_z 1
		.amdhsa_system_sgpr_workgroup_info 0
		.amdhsa_system_vgpr_workitem_id 1
		.amdhsa_next_free_vgpr 27
		.amdhsa_next_free_sgpr 50
		.amdhsa_reserve_vcc 1
		.amdhsa_float_round_mode_32 0
		.amdhsa_float_round_mode_16_64 0
		.amdhsa_float_denorm_mode_32 3
		.amdhsa_float_denorm_mode_16_64 3
		.amdhsa_dx10_clamp 1
		.amdhsa_ieee_mode 1
		.amdhsa_fp16_overflow 0
		.amdhsa_workgroup_processor_mode 1
		.amdhsa_memory_ordered 1
		.amdhsa_forward_progress 0
		.amdhsa_shared_vgpr_count 0
		.amdhsa_exception_fp_ieee_invalid_op 0
		.amdhsa_exception_fp_denorm_src 0
		.amdhsa_exception_fp_ieee_div_zero 0
		.amdhsa_exception_fp_ieee_overflow 0
		.amdhsa_exception_fp_ieee_underflow 0
		.amdhsa_exception_fp_ieee_inexact 0
		.amdhsa_exception_int_div_zero 0
	.end_amdhsa_kernel
	.section	.text._ZN9rocsolver6v33100L18getf2_panel_kernelIfllPKPfEEvT0_S5_T2_lS5_lPS5_llPT1_S5_S5_S7_l,"axG",@progbits,_ZN9rocsolver6v33100L18getf2_panel_kernelIfllPKPfEEvT0_S5_T2_lS5_lPS5_llPT1_S5_S5_S7_l,comdat
.Lfunc_end8:
	.size	_ZN9rocsolver6v33100L18getf2_panel_kernelIfllPKPfEEvT0_S5_T2_lS5_lPS5_llPT1_S5_S5_S7_l, .Lfunc_end8-_ZN9rocsolver6v33100L18getf2_panel_kernelIfllPKPfEEvT0_S5_T2_lS5_lPS5_llPT1_S5_S5_S7_l
                                        ; -- End function
	.section	.AMDGPU.csdata,"",@progbits
; Kernel info:
; codeLenInByte = 2392
; NumSgprs: 52
; NumVgprs: 27
; ScratchSize: 0
; MemoryBound: 1
; FloatMode: 240
; IeeeMode: 1
; LDSByteSize: 8 bytes/workgroup (compile time only)
; SGPRBlocks: 6
; VGPRBlocks: 3
; NumSGPRsForWavesPerEU: 52
; NumVGPRsForWavesPerEU: 27
; Occupancy: 16
; WaveLimiterHint : 1
; COMPUTE_PGM_RSRC2:SCRATCH_EN: 0
; COMPUTE_PGM_RSRC2:USER_SGPR: 14
; COMPUTE_PGM_RSRC2:TRAP_HANDLER: 0
; COMPUTE_PGM_RSRC2:TGID_X_EN: 1
; COMPUTE_PGM_RSRC2:TGID_Y_EN: 0
; COMPUTE_PGM_RSRC2:TGID_Z_EN: 1
; COMPUTE_PGM_RSRC2:TIDIG_COMP_CNT: 1
	.section	.text._ZN9rocsolver6v33100L23getf2_npvt_panel_kernelIfllPKPfEEvT0_S5_T2_lS5_lPT1_S5_S5_,"axG",@progbits,_ZN9rocsolver6v33100L23getf2_npvt_panel_kernelIfllPKPfEEvT0_S5_T2_lS5_lPT1_S5_S5_,comdat
	.globl	_ZN9rocsolver6v33100L23getf2_npvt_panel_kernelIfllPKPfEEvT0_S5_T2_lS5_lPT1_S5_S5_ ; -- Begin function _ZN9rocsolver6v33100L23getf2_npvt_panel_kernelIfllPKPfEEvT0_S5_T2_lS5_lPT1_S5_S5_
	.p2align	8
	.type	_ZN9rocsolver6v33100L23getf2_npvt_panel_kernelIfllPKPfEEvT0_S5_T2_lS5_lPT1_S5_S5_,@function
_ZN9rocsolver6v33100L23getf2_npvt_panel_kernelIfllPKPfEEvT0_S5_T2_lS5_lPT1_S5_S5_: ; @_ZN9rocsolver6v33100L23getf2_npvt_panel_kernelIfllPKPfEEvT0_S5_T2_lS5_lPT1_S5_S5_
; %bb.0:
	s_load_b256 s[4:11], s[0:1], 0x0
	s_mov_b32 s2, s15
	s_mov_b32 s3, 0
	v_mov_b32_e32 v2, 0
	s_lshl_b64 s[12:13], s[2:3], 3
	v_bfe_u32 v4, v0, 10, 10
	s_delay_alu instid0(VALU_DEP_2)
	v_dual_mov_b32 v1, v2 :: v_dual_and_b32 v0, 0x3ff, v0
	s_waitcnt lgkmcnt(0)
	s_add_u32 s2, s8, s12
	s_addc_u32 s3, s9, s13
	s_lshl_b64 s[10:11], s[10:11], 2
	s_load_b64 s[16:17], s[2:3], 0x0
	s_clause 0x1
	s_load_b64 s[8:9], s[0:1], 0x20
	s_load_b32 s3, s[0:1], 0x54
	v_cmp_eq_u32_e64 s2, 0, v4
	s_waitcnt lgkmcnt(0)
	s_add_u32 s18, s16, s10
	s_addc_u32 s19, s17, s11
	s_delay_alu instid0(VALU_DEP_1)
	s_and_saveexec_b32 s14, s2
	s_cbranch_execz .LBB9_4
; %bb.1:
	s_mov_b32 s15, exec_lo
	v_cmpx_gt_i64_e64 s[4:5], v[0:1]
	s_cbranch_execz .LBB9_3
; %bb.2:
	v_lshlrev_b32_e32 v2, 2, v0
	global_load_b32 v2, v2, s[18:19]
.LBB9_3:
	s_or_b32 exec_lo, exec_lo, s15
	v_lshl_add_u32 v3, v0, 2, 0
	s_waitcnt vmcnt(0)
	ds_store_b32 v3, v2
.LBB9_4:
	s_or_b32 exec_lo, exec_lo, s14
	v_cmp_lt_i64_e64 s14, s[6:7], 1
	s_delay_alu instid0(VALU_DEP_1)
	s_and_b32 vcc_lo, exec_lo, s14
	s_cbranch_vccnz .LBB9_25
; %bb.5:
	v_dual_mov_b32 v9, 0 :: v_dual_add_nc_u32 v8, 2, v4
	v_mad_u64_u32 v[5:6], null, v0, s8, 0
	v_lshlrev_b32_e32 v7, 2, v0
	s_delay_alu instid0(VALU_DEP_3) | instskip(SKIP_3) | instid1(VALU_DEP_4)
	v_mad_u64_u32 v[2:3], null, s8, v8, 0
	v_cmp_gt_u64_e32 vcc_lo, s[6:7], v[0:1]
	s_lshr_b32 s22, s3, 16
	s_and_b32 s14, s3, 0xffff
	v_mad_u64_u32 v[14:15], null, v0, s9, v[6:7]
	v_cmp_gt_i64_e64 s3, s[4:5], v[0:1]
	s_delay_alu instid0(VALU_DEP_4) | instskip(SKIP_3) | instid1(VALU_DEP_4)
	v_mad_u64_u32 v[12:13], null, s9, v8, v[3:4]
	v_lshlrev_b32_e32 v4, 2, v4
	s_lshl_b32 s4, s14, 2
	s_mov_b64 s[20:21], 0
	v_mov_b32_e32 v6, v14
	v_add_co_u32 v10, s5, s18, v7
	s_delay_alu instid0(VALU_DEP_4) | instskip(SKIP_2) | instid1(VALU_DEP_2)
	v_dual_mov_b32 v3, v12 :: v_dual_add_nc_u32 v12, 0, v7
	v_add_co_ci_u32_e64 v11, null, s19, 0, s5
	s_and_b32 s5, s2, vcc_lo
	v_lshlrev_b64 v[2:3], 2, v[2:3]
	s_add_i32 s4, s4, 0
	s_add_u32 s14, s6, -1
	v_add_nc_u32_e32 v13, s4, v7
	v_add3_u32 v16, s4, v4, 8
	s_addc_u32 s15, s7, -1
	v_add_co_u32 v14, vcc_lo, v2, s10
	v_add_co_ci_u32_e32 v15, vcc_lo, s11, v3, vcc_lo
	v_lshlrev_b64 v[2:3], 2, v[5:6]
	s_delay_alu instid0(VALU_DEP_3) | instskip(NEXT) | instid1(VALU_DEP_3)
	v_add_co_u32 v5, vcc_lo, v14, v7
	v_add_co_ci_u32_e32 v6, vcc_lo, 0, v15, vcc_lo
	s_mul_i32 s10, s9, s22
	s_delay_alu instid0(VALU_DEP_3) | instskip(NEXT) | instid1(VALU_DEP_4)
	v_add_co_u32 v14, vcc_lo, s18, v2
	v_add_co_ci_u32_e32 v15, vcc_lo, s19, v3, vcc_lo
	v_add_co_u32 v2, vcc_lo, s16, v5
	s_mul_hi_u32 s11, s8, s22
	v_add_co_ci_u32_e32 v3, vcc_lo, s17, v6, vcc_lo
	s_add_i32 s11, s11, s10
	s_mul_i32 s10, s8, s22
	s_add_i32 s23, s4, 4
	s_lshl_b64 s[16:17], s[8:9], 2
	s_lshl_b64 s[18:19], s[10:11], 2
	s_lshl_b32 s24, s22, 2
	s_mov_b64 s[10:11], 0
	s_branch .LBB9_7
.LBB9_6:                                ;   in Loop: Header=BB9_7 Depth=1
	s_or_b32 exec_lo, exec_lo, s4
	v_add_co_u32 v2, vcc_lo, v2, s16
	s_add_u32 s20, s20, 1
	v_add_co_ci_u32_e32 v3, vcc_lo, s17, v3, vcc_lo
	v_add_nc_u32_e32 v16, 4, v16
	s_addc_u32 s21, s21, 0
	s_delay_alu instid0(SALU_CYCLE_1)
	s_cmp_eq_u64 s[20:21], s[6:7]
	s_cbranch_scc1 .LBB9_26
.LBB9_7:                                ; =>This Loop Header: Depth=1
                                        ;     Child Loop BB9_17 Depth 2
	s_lshl_b32 s25, s20, 2
	s_waitcnt lgkmcnt(0)
	s_add_i32 s4, s25, 0
	s_waitcnt_vscnt null, 0x0
	s_barrier
	v_mov_b32_e32 v4, s4
	buffer_gl0_inv
	s_cmp_eq_u64 s[10:11], 0
	s_cselect_b32 s4, -1, 0
	ds_load_b32 v4, v4
	s_waitcnt lgkmcnt(0)
	v_cmp_eq_f32_e32 vcc_lo, 0, v4
	s_and_b32 s4, vcc_lo, s4
	s_delay_alu instid0(SALU_CYCLE_1)
	s_and_not1_b32 vcc_lo, exec_lo, s4
	s_cbranch_vccz .LBB9_9
; %bb.8:                                ;   in Loop: Header=BB9_7 Depth=1
	v_div_scale_f32 v5, null, v4, v4, 1.0
	s_delay_alu instid0(VALU_DEP_1) | instskip(SKIP_2) | instid1(VALU_DEP_1)
	v_rcp_f32_e32 v6, v5
	s_waitcnt_depctr 0xfff
	v_fma_f32 v7, -v5, v6, 1.0
	v_fmac_f32_e32 v6, v7, v6
	v_div_scale_f32 v7, vcc_lo, 1.0, v4, 1.0
	s_delay_alu instid0(VALU_DEP_1) | instskip(NEXT) | instid1(VALU_DEP_1)
	v_mul_f32_e32 v17, v7, v6
	v_fma_f32 v18, -v5, v17, v7
	s_delay_alu instid0(VALU_DEP_1) | instskip(NEXT) | instid1(VALU_DEP_1)
	v_fmac_f32_e32 v17, v18, v6
	v_fma_f32 v5, -v5, v17, v7
	s_delay_alu instid0(VALU_DEP_1) | instskip(NEXT) | instid1(VALU_DEP_1)
	v_div_fmas_f32 v5, v5, v6, v17
	v_div_fixup_f32 v17, v5, v4, 1.0
	s_cbranch_execz .LBB9_10
	s_branch .LBB9_11
.LBB9_9:                                ;   in Loop: Header=BB9_7 Depth=1
                                        ; implicit-def: $sgpr10_sgpr11
                                        ; implicit-def: $vgpr17
.LBB9_10:                               ;   in Loop: Header=BB9_7 Depth=1
	v_mov_b32_e32 v17, v4
	s_add_u32 s10, s20, 1
	s_addc_u32 s11, s21, 0
.LBB9_11:                               ;   in Loop: Header=BB9_7 Depth=1
	s_mov_b32 s4, exec_lo
	v_cmpx_ne_u64_e64 s[20:21], v[0:1]
	s_cbranch_execnz .LBB9_22
; %bb.12:                               ;   in Loop: Header=BB9_7 Depth=1
	s_or_b32 exec_lo, exec_lo, s4
	s_and_saveexec_b32 s4, s5
	s_cbranch_execz .LBB9_14
.LBB9_13:                               ;   in Loop: Header=BB9_7 Depth=1
	s_lshl_b64 s[26:27], s[20:21], 2
	s_delay_alu instid0(SALU_CYCLE_1)
	v_add_co_u32 v4, vcc_lo, v14, s26
	v_add_co_ci_u32_e32 v5, vcc_lo, s27, v15, vcc_lo
	global_load_b32 v4, v[4:5], off
	s_waitcnt vmcnt(0)
	ds_store_b32 v13, v4
.LBB9_14:                               ;   in Loop: Header=BB9_7 Depth=1
	s_or_b32 exec_lo, exec_lo, s4
	v_cmp_lt_u64_e32 vcc_lo, s[20:21], v[0:1]
	s_waitcnt lgkmcnt(0)
	s_waitcnt_vscnt null, 0x0
	s_barrier
	buffer_gl0_inv
	s_and_b32 s4, s3, vcc_lo
	s_delay_alu instid0(SALU_CYCLE_1)
	s_and_saveexec_b32 s26, s4
	s_cbranch_execz .LBB9_20
; %bb.15:                               ;   in Loop: Header=BB9_7 Depth=1
	v_add_co_u32 v4, s4, s20, v8
	s_delay_alu instid0(VALU_DEP_1) | instskip(SKIP_1) | instid1(VALU_DEP_1)
	v_add_co_ci_u32_e64 v5, null, s21, 0, s4
	s_mov_b32 s27, exec_lo
	v_cmpx_gt_i64_e64 s[6:7], v[4:5]
	s_cbranch_execz .LBB9_18
; %bb.16:                               ;   in Loop: Header=BB9_7 Depth=1
	v_dual_mov_b32 v18, v16 :: v_dual_mov_b32 v7, v3
	v_mov_b32_e32 v6, v2
	s_mov_b32 s28, 0
	.p2align	6
.LBB9_17:                               ;   Parent Loop BB9_7 Depth=1
                                        ; =>  This Inner Loop Header: Depth=2
	global_load_b32 v19, v[6:7], off
	ds_load_b32 v20, v18
	v_add_co_u32 v4, vcc_lo, v4, s22
	v_add_co_ci_u32_e32 v5, vcc_lo, 0, v5, vcc_lo
	v_add_nc_u32_e32 v18, s24, v18
	s_delay_alu instid0(VALU_DEP_2)
	v_cmp_le_i64_e32 vcc_lo, s[6:7], v[4:5]
	s_or_b32 s28, vcc_lo, s28
	s_waitcnt vmcnt(0) lgkmcnt(0)
	v_fma_f32 v19, -v17, v20, v19
	global_store_b32 v[6:7], v19, off
	v_add_co_u32 v6, s4, v6, s18
	s_delay_alu instid0(VALU_DEP_1)
	v_add_co_ci_u32_e64 v7, s4, s19, v7, s4
	s_and_not1_b32 exec_lo, exec_lo, s28
	s_cbranch_execnz .LBB9_17
.LBB9_18:                               ;   in Loop: Header=BB9_7 Depth=1
	s_or_b32 exec_lo, exec_lo, s27
	v_cmp_lt_i64_e64 s4, s[20:21], s[14:15]
	s_delay_alu instid0(VALU_DEP_1) | instskip(NEXT) | instid1(SALU_CYCLE_1)
	s_and_b32 s4, s2, s4
	s_and_b32 exec_lo, exec_lo, s4
	s_cbranch_execz .LBB9_20
; %bb.19:                               ;   in Loop: Header=BB9_7 Depth=1
	s_add_u32 s4, s20, 1
	s_addc_u32 s29, s21, 0
	s_mul_i32 s27, s4, s9
	s_mul_hi_u32 s28, s4, s8
	s_mul_i32 s29, s29, s8
	s_add_i32 s27, s28, s27
	s_mul_i32 s28, s4, s8
	s_add_i32 s29, s27, s29
	s_add_i32 s4, s23, s25
	s_lshl_b64 s[28:29], s[28:29], 2
	v_mov_b32_e32 v7, s4
	v_add_co_u32 v4, vcc_lo, v10, s28
	v_add_co_ci_u32_e32 v5, vcc_lo, s29, v11, vcc_lo
	ds_load_b32 v7, v7
	global_load_b32 v6, v[4:5], off
	s_waitcnt vmcnt(0) lgkmcnt(0)
	v_fma_f32 v6, -v17, v7, v6
	global_store_b32 v[4:5], v6, off
	ds_store_b32 v12, v6
.LBB9_20:                               ;   in Loop: Header=BB9_7 Depth=1
	s_or_b32 exec_lo, exec_lo, s26
	v_cmp_ge_u64_e32 vcc_lo, s[20:21], v[0:1]
	s_and_b32 s25, s2, vcc_lo
	s_delay_alu instid0(SALU_CYCLE_1)
	s_and_saveexec_b32 s4, s25
	s_cbranch_execz .LBB9_6
; %bb.21:                               ;   in Loop: Header=BB9_7 Depth=1
	ds_store_b32 v12, v9
	s_branch .LBB9_6
.LBB9_22:                               ;   in Loop: Header=BB9_7 Depth=1
	ds_load_b32 v4, v12
	v_cmp_le_u64_e32 vcc_lo, s[20:21], v[0:1]
	s_and_b32 s26, s3, vcc_lo
	s_delay_alu instid0(SALU_CYCLE_1)
	s_and_b32 s27, s2, s26
	s_waitcnt lgkmcnt(0)
	v_mul_f32_e32 v17, v17, v4
	s_and_saveexec_b32 s26, s27
	s_cbranch_execz .LBB9_24
; %bb.23:                               ;   in Loop: Header=BB9_7 Depth=1
	s_mul_i32 s27, s20, s9
	s_mul_hi_u32 s28, s20, s8
	s_mul_i32 s29, s21, s8
	s_add_i32 s27, s28, s27
	s_mul_i32 s28, s20, s8
	s_add_i32 s29, s27, s29
	s_delay_alu instid0(SALU_CYCLE_1) | instskip(NEXT) | instid1(SALU_CYCLE_1)
	s_lshl_b64 s[28:29], s[28:29], 2
	v_add_co_u32 v4, vcc_lo, v10, s28
	v_add_co_ci_u32_e32 v5, vcc_lo, s29, v11, vcc_lo
	global_store_b32 v[4:5], v17, off
.LBB9_24:                               ;   in Loop: Header=BB9_7 Depth=1
	s_or_b32 exec_lo, exec_lo, s26
	s_delay_alu instid0(SALU_CYCLE_1)
	s_or_b32 exec_lo, exec_lo, s4
	s_and_saveexec_b32 s4, s5
	s_cbranch_execnz .LBB9_13
	s_branch .LBB9_14
.LBB9_25:
	s_mov_b64 s[10:11], 0
.LBB9_26:
	s_mov_b32 s3, exec_lo
	v_cmpx_eq_u32_e32 0, v0
	s_cbranch_execz .LBB9_29
; %bb.27:
	s_load_b64 s[4:5], s[0:1], 0x30
	v_mov_b32_e32 v0, 0
	v_cmp_gt_i64_e64 s3, s[10:11], 0
	s_waitcnt lgkmcnt(0)
	s_add_u32 s4, s4, s12
	s_addc_u32 s5, s5, s13
	global_load_b64 v[1:2], v0, s[4:5]
	s_waitcnt vmcnt(0)
	v_readfirstlane_b32 s6, v1
	v_readfirstlane_b32 s7, v2
	s_delay_alu instid0(VALU_DEP_1) | instskip(SKIP_1) | instid1(SALU_CYCLE_1)
	s_cmp_eq_u64 s[6:7], 0
	s_cselect_b32 s6, -1, 0
	s_and_b32 s3, s6, s3
	s_delay_alu instid0(SALU_CYCLE_1) | instskip(NEXT) | instid1(SALU_CYCLE_1)
	s_and_b32 s2, s2, s3
	s_and_b32 exec_lo, exec_lo, s2
	s_cbranch_execz .LBB9_29
; %bb.28:
	s_load_b64 s[0:1], s[0:1], 0x40
	s_waitcnt lgkmcnt(0)
	s_add_u32 s0, s10, s0
	s_addc_u32 s1, s11, s1
	s_delay_alu instid0(SALU_CYCLE_1)
	v_dual_mov_b32 v2, s1 :: v_dual_mov_b32 v1, s0
	global_store_b64 v0, v[1:2], s[4:5]
.LBB9_29:
	s_nop 0
	s_sendmsg sendmsg(MSG_DEALLOC_VGPRS)
	s_endpgm
	.section	.rodata,"a",@progbits
	.p2align	6, 0x0
	.amdhsa_kernel _ZN9rocsolver6v33100L23getf2_npvt_panel_kernelIfllPKPfEEvT0_S5_T2_lS5_lPT1_S5_S5_
		.amdhsa_group_segment_fixed_size 0
		.amdhsa_private_segment_fixed_size 0
		.amdhsa_kernarg_size 328
		.amdhsa_user_sgpr_count 14
		.amdhsa_user_sgpr_dispatch_ptr 0
		.amdhsa_user_sgpr_queue_ptr 0
		.amdhsa_user_sgpr_kernarg_segment_ptr 1
		.amdhsa_user_sgpr_dispatch_id 0
		.amdhsa_user_sgpr_private_segment_size 0
		.amdhsa_wavefront_size32 1
		.amdhsa_uses_dynamic_stack 0
		.amdhsa_enable_private_segment 0
		.amdhsa_system_sgpr_workgroup_id_x 1
		.amdhsa_system_sgpr_workgroup_id_y 0
		.amdhsa_system_sgpr_workgroup_id_z 1
		.amdhsa_system_sgpr_workgroup_info 0
		.amdhsa_system_vgpr_workitem_id 1
		.amdhsa_next_free_vgpr 21
		.amdhsa_next_free_sgpr 30
		.amdhsa_reserve_vcc 1
		.amdhsa_float_round_mode_32 0
		.amdhsa_float_round_mode_16_64 0
		.amdhsa_float_denorm_mode_32 3
		.amdhsa_float_denorm_mode_16_64 3
		.amdhsa_dx10_clamp 1
		.amdhsa_ieee_mode 1
		.amdhsa_fp16_overflow 0
		.amdhsa_workgroup_processor_mode 1
		.amdhsa_memory_ordered 1
		.amdhsa_forward_progress 0
		.amdhsa_shared_vgpr_count 0
		.amdhsa_exception_fp_ieee_invalid_op 0
		.amdhsa_exception_fp_denorm_src 0
		.amdhsa_exception_fp_ieee_div_zero 0
		.amdhsa_exception_fp_ieee_overflow 0
		.amdhsa_exception_fp_ieee_underflow 0
		.amdhsa_exception_fp_ieee_inexact 0
		.amdhsa_exception_int_div_zero 0
	.end_amdhsa_kernel
	.section	.text._ZN9rocsolver6v33100L23getf2_npvt_panel_kernelIfllPKPfEEvT0_S5_T2_lS5_lPT1_S5_S5_,"axG",@progbits,_ZN9rocsolver6v33100L23getf2_npvt_panel_kernelIfllPKPfEEvT0_S5_T2_lS5_lPT1_S5_S5_,comdat
.Lfunc_end9:
	.size	_ZN9rocsolver6v33100L23getf2_npvt_panel_kernelIfllPKPfEEvT0_S5_T2_lS5_lPT1_S5_S5_, .Lfunc_end9-_ZN9rocsolver6v33100L23getf2_npvt_panel_kernelIfllPKPfEEvT0_S5_T2_lS5_lPT1_S5_S5_
                                        ; -- End function
	.section	.AMDGPU.csdata,"",@progbits
; Kernel info:
; codeLenInByte = 1372
; NumSgprs: 32
; NumVgprs: 21
; ScratchSize: 0
; MemoryBound: 0
; FloatMode: 240
; IeeeMode: 1
; LDSByteSize: 0 bytes/workgroup (compile time only)
; SGPRBlocks: 3
; VGPRBlocks: 2
; NumSGPRsForWavesPerEU: 32
; NumVGPRsForWavesPerEU: 21
; Occupancy: 16
; WaveLimiterHint : 1
; COMPUTE_PGM_RSRC2:SCRATCH_EN: 0
; COMPUTE_PGM_RSRC2:USER_SGPR: 14
; COMPUTE_PGM_RSRC2:TRAP_HANDLER: 0
; COMPUTE_PGM_RSRC2:TGID_X_EN: 1
; COMPUTE_PGM_RSRC2:TGID_Y_EN: 0
; COMPUTE_PGM_RSRC2:TGID_Z_EN: 1
; COMPUTE_PGM_RSRC2:TIDIG_COMP_CNT: 1
	.section	.text._ZN9rocsolver6v33100L25getf2_scale_update_kernelIflPfEEvT0_S3_PT_T1_lS3_l,"axG",@progbits,_ZN9rocsolver6v33100L25getf2_scale_update_kernelIflPfEEvT0_S3_PT_T1_lS3_l,comdat
	.globl	_ZN9rocsolver6v33100L25getf2_scale_update_kernelIflPfEEvT0_S3_PT_T1_lS3_l ; -- Begin function _ZN9rocsolver6v33100L25getf2_scale_update_kernelIflPfEEvT0_S3_PT_T1_lS3_l
	.p2align	8
	.type	_ZN9rocsolver6v33100L25getf2_scale_update_kernelIflPfEEvT0_S3_PT_T1_lS3_l,@function
_ZN9rocsolver6v33100L25getf2_scale_update_kernelIflPfEEvT0_S3_PT_T1_lS3_l: ; @_ZN9rocsolver6v33100L25getf2_scale_update_kernelIflPfEEvT0_S3_PT_T1_lS3_l
; %bb.0:
	s_clause 0x2
	s_load_b32 s10, s[0:1], 0x44
	s_load_b256 s[16:23], s[0:1], 0x20
	s_load_b256 s[0:7], s[0:1], 0x0
	v_dual_mov_b32 v1, 0 :: v_dual_and_b32 v2, 0x3ff, v0
	v_bfe_u32 v0, v0, 10, 10
	s_mov_b32 s24, s15
	s_mov_b32 s25, 0
	s_delay_alu instid0(VALU_DEP_2)
	v_mov_b32_e32 v4, v1
	s_waitcnt lgkmcnt(0)
	s_lshr_b32 s12, s10, 16
	s_mul_i32 s9, s15, s21
	s_mul_hi_u32 s11, s15, s20
	s_mul_i32 s8, s15, s20
	s_add_i32 s9, s11, s9
	s_and_b32 s13, s10, 0xffff
	s_lshl_b64 s[8:9], s[8:9], 2
	v_mad_u32_u24 v3, v2, s12, v0
	s_add_u32 s15, s6, s8
	s_addc_u32 s20, s7, s9
	s_lshl_b64 s[10:11], s[16:17], 2
	s_mov_b32 s17, exec_lo
	s_add_u32 s15, s15, s10
	s_addc_u32 s16, s20, s11
	s_lshl_b64 s[20:21], s[24:25], 2
	s_delay_alu instid0(SALU_CYCLE_1)
	s_add_u32 s4, s4, s20
	s_addc_u32 s5, s5, s21
	v_cmpx_gt_i64_e64 s[2:3], v[3:4]
	s_cbranch_execz .LBB10_2
; %bb.1:
	v_mad_u64_u32 v[4:5], null, v3, s18, 0
	s_lshl_b64 s[20:21], s[18:19], 2
	s_lshl_b32 s22, s13, 2
	s_add_u32 s20, s15, s20
	s_addc_u32 s21, s16, s21
	s_delay_alu instid0(VALU_DEP_1) | instskip(SKIP_1) | instid1(VALU_DEP_1)
	v_mad_u64_u32 v[6:7], null, v3, s19, v[5:6]
	v_lshlrev_b32_e32 v3, 2, v3
	v_add3_u32 v3, 0, s22, v3
	s_delay_alu instid0(VALU_DEP_3) | instskip(NEXT) | instid1(VALU_DEP_1)
	v_mov_b32_e32 v5, v6
	v_lshlrev_b64 v[4:5], 2, v[4:5]
	s_delay_alu instid0(VALU_DEP_1) | instskip(NEXT) | instid1(VALU_DEP_2)
	v_add_co_u32 v4, vcc_lo, s20, v4
	v_add_co_ci_u32_e32 v5, vcc_lo, s21, v5, vcc_lo
	global_load_b32 v4, v[4:5], off
	s_waitcnt vmcnt(0)
	ds_store_b32 v3, v4
.LBB10_2:
	s_or_b32 exec_lo, exec_lo, s17
	v_mov_b32_e32 v3, v1
	s_delay_alu instid0(VALU_DEP_1) | instskip(SKIP_1) | instid1(VALU_DEP_2)
	v_mad_u64_u32 v[4:5], null, s13, s14, v[2:3]
	v_lshl_add_u32 v2, v2, 2, 0
	v_cmp_gt_i64_e32 vcc_lo, s[0:1], v[4:5]
	v_cmp_eq_u32_e64 s0, 0, v0
	v_lshlrev_b64 v[3:4], 2, v[4:5]
	s_delay_alu instid0(VALU_DEP_2) | instskip(NEXT) | instid1(SALU_CYCLE_1)
	s_and_b32 s0, s0, vcc_lo
	s_and_saveexec_b32 s1, s0
	s_cbranch_execz .LBB10_4
; %bb.3:
	s_delay_alu instid0(VALU_DEP_1) | instskip(NEXT) | instid1(VALU_DEP_1)
	v_add_co_u32 v5, s0, s15, v3
	v_add_co_ci_u32_e64 v6, s0, s16, v4, s0
	s_load_b32 s0, s[4:5], 0x0
	global_load_b32 v7, v[5:6], off offset:4
	s_waitcnt vmcnt(0) lgkmcnt(0)
	v_mul_f32_e32 v7, s0, v7
	ds_store_b32 v2, v7
	global_store_b32 v[5:6], v7, off offset:4
.LBB10_4:
	s_or_b32 exec_lo, exec_lo, s1
	v_cmp_gt_i64_e64 s0, s[2:3], v[0:1]
	s_waitcnt lgkmcnt(0)
	s_waitcnt_vscnt null, 0x0
	s_barrier
	buffer_gl0_inv
	s_and_b32 s0, vcc_lo, s0
	s_delay_alu instid0(SALU_CYCLE_1)
	s_and_saveexec_b32 s1, s0
	s_cbranch_execz .LBB10_7
; %bb.5:
	v_lshlrev_b32_e32 v9, 2, v0
	s_add_u32 s0, s10, s8
	s_addc_u32 s1, s11, s9
	s_lshl_b32 s8, s13, 2
	s_mul_i32 s4, s18, s12
	v_add_nc_u32_e32 v10, 4, v9
	s_delay_alu instid0(VALU_DEP_1) | instskip(SKIP_2) | instid1(SALU_CYCLE_1)
	v_mad_u64_u32 v[6:7], null, s18, v10, s[0:1]
	s_mul_i32 s0, s19, s12
	s_mul_hi_u32 s1, s18, s12
	s_add_i32 s5, s1, s0
	s_mov_b32 s1, 0
	s_lshl_b64 s[4:5], s[4:5], 2
	s_delay_alu instid0(VALU_DEP_1) | instskip(NEXT) | instid1(VALU_DEP_2)
	v_mov_b32_e32 v5, v7
	v_add_co_u32 v3, vcc_lo, v6, v3
	s_delay_alu instid0(VALU_DEP_2) | instskip(SKIP_2) | instid1(VALU_DEP_1)
	v_mad_u64_u32 v[7:8], null, s19, v10, v[5:6]
	ds_load_b32 v5, v2
	v_mov_b32_e32 v2, v7
	v_add_co_ci_u32_e32 v2, vcc_lo, v2, v4, vcc_lo
	v_add_co_u32 v3, vcc_lo, v3, s6
	s_lshl_b32 s6, s12, 2
	s_delay_alu instid0(VALU_DEP_2) | instskip(NEXT) | instid1(VALU_DEP_2)
	v_add_co_ci_u32_e32 v4, vcc_lo, s7, v2, vcc_lo
	v_add_co_u32 v2, vcc_lo, v3, 4
	s_delay_alu instid0(VALU_DEP_2)
	v_add_co_ci_u32_e32 v3, vcc_lo, 0, v4, vcc_lo
	v_add3_u32 v4, 0, s8, v9
	.p2align	6
.LBB10_6:                               ; =>This Inner Loop Header: Depth=1
	global_load_b32 v6, v[2:3], off
	ds_load_b32 v7, v4
	v_add_co_u32 v0, vcc_lo, v0, s12
	v_add_co_ci_u32_e32 v1, vcc_lo, 0, v1, vcc_lo
	v_add_nc_u32_e32 v4, s6, v4
	s_delay_alu instid0(VALU_DEP_2)
	v_cmp_le_i64_e32 vcc_lo, s[2:3], v[0:1]
	s_or_b32 s1, vcc_lo, s1
	s_waitcnt vmcnt(0) lgkmcnt(0)
	v_fma_f32 v6, -v5, v7, v6
	global_store_b32 v[2:3], v6, off
	v_add_co_u32 v2, s0, v2, s4
	s_delay_alu instid0(VALU_DEP_1)
	v_add_co_ci_u32_e64 v3, s0, s5, v3, s0
	s_and_not1_b32 exec_lo, exec_lo, s1
	s_cbranch_execnz .LBB10_6
.LBB10_7:
	s_nop 0
	s_sendmsg sendmsg(MSG_DEALLOC_VGPRS)
	s_endpgm
	.section	.rodata,"a",@progbits
	.p2align	6, 0x0
	.amdhsa_kernel _ZN9rocsolver6v33100L25getf2_scale_update_kernelIflPfEEvT0_S3_PT_T1_lS3_l
		.amdhsa_group_segment_fixed_size 0
		.amdhsa_private_segment_fixed_size 0
		.amdhsa_kernarg_size 312
		.amdhsa_user_sgpr_count 14
		.amdhsa_user_sgpr_dispatch_ptr 0
		.amdhsa_user_sgpr_queue_ptr 0
		.amdhsa_user_sgpr_kernarg_segment_ptr 1
		.amdhsa_user_sgpr_dispatch_id 0
		.amdhsa_user_sgpr_private_segment_size 0
		.amdhsa_wavefront_size32 1
		.amdhsa_uses_dynamic_stack 0
		.amdhsa_enable_private_segment 0
		.amdhsa_system_sgpr_workgroup_id_x 1
		.amdhsa_system_sgpr_workgroup_id_y 0
		.amdhsa_system_sgpr_workgroup_id_z 1
		.amdhsa_system_sgpr_workgroup_info 0
		.amdhsa_system_vgpr_workitem_id 1
		.amdhsa_next_free_vgpr 11
		.amdhsa_next_free_sgpr 26
		.amdhsa_reserve_vcc 1
		.amdhsa_float_round_mode_32 0
		.amdhsa_float_round_mode_16_64 0
		.amdhsa_float_denorm_mode_32 3
		.amdhsa_float_denorm_mode_16_64 3
		.amdhsa_dx10_clamp 1
		.amdhsa_ieee_mode 1
		.amdhsa_fp16_overflow 0
		.amdhsa_workgroup_processor_mode 1
		.amdhsa_memory_ordered 1
		.amdhsa_forward_progress 0
		.amdhsa_shared_vgpr_count 0
		.amdhsa_exception_fp_ieee_invalid_op 0
		.amdhsa_exception_fp_denorm_src 0
		.amdhsa_exception_fp_ieee_div_zero 0
		.amdhsa_exception_fp_ieee_overflow 0
		.amdhsa_exception_fp_ieee_underflow 0
		.amdhsa_exception_fp_ieee_inexact 0
		.amdhsa_exception_int_div_zero 0
	.end_amdhsa_kernel
	.section	.text._ZN9rocsolver6v33100L25getf2_scale_update_kernelIflPfEEvT0_S3_PT_T1_lS3_l,"axG",@progbits,_ZN9rocsolver6v33100L25getf2_scale_update_kernelIflPfEEvT0_S3_PT_T1_lS3_l,comdat
.Lfunc_end10:
	.size	_ZN9rocsolver6v33100L25getf2_scale_update_kernelIflPfEEvT0_S3_PT_T1_lS3_l, .Lfunc_end10-_ZN9rocsolver6v33100L25getf2_scale_update_kernelIflPfEEvT0_S3_PT_T1_lS3_l
                                        ; -- End function
	.section	.AMDGPU.csdata,"",@progbits
; Kernel info:
; codeLenInByte = 680
; NumSgprs: 28
; NumVgprs: 11
; ScratchSize: 0
; MemoryBound: 0
; FloatMode: 240
; IeeeMode: 1
; LDSByteSize: 0 bytes/workgroup (compile time only)
; SGPRBlocks: 3
; VGPRBlocks: 1
; NumSGPRsForWavesPerEU: 28
; NumVGPRsForWavesPerEU: 11
; Occupancy: 16
; WaveLimiterHint : 0
; COMPUTE_PGM_RSRC2:SCRATCH_EN: 0
; COMPUTE_PGM_RSRC2:USER_SGPR: 14
; COMPUTE_PGM_RSRC2:TRAP_HANDLER: 0
; COMPUTE_PGM_RSRC2:TGID_X_EN: 1
; COMPUTE_PGM_RSRC2:TGID_Y_EN: 0
; COMPUTE_PGM_RSRC2:TGID_Z_EN: 1
; COMPUTE_PGM_RSRC2:TIDIG_COMP_CNT: 1
	.section	.text._ZN9rocsolver6v33100L25getf2_scale_update_kernelIflPKPfEEvT0_S5_PT_T1_lS5_l,"axG",@progbits,_ZN9rocsolver6v33100L25getf2_scale_update_kernelIflPKPfEEvT0_S5_PT_T1_lS5_l,comdat
	.globl	_ZN9rocsolver6v33100L25getf2_scale_update_kernelIflPKPfEEvT0_S5_PT_T1_lS5_l ; -- Begin function _ZN9rocsolver6v33100L25getf2_scale_update_kernelIflPKPfEEvT0_S5_PT_T1_lS5_l
	.p2align	8
	.type	_ZN9rocsolver6v33100L25getf2_scale_update_kernelIflPKPfEEvT0_S5_PT_T1_lS5_l,@function
_ZN9rocsolver6v33100L25getf2_scale_update_kernelIflPKPfEEvT0_S5_PT_T1_lS5_l: ; @_ZN9rocsolver6v33100L25getf2_scale_update_kernelIflPKPfEEvT0_S5_PT_T1_lS5_l
; %bb.0:
	s_clause 0x1
	s_load_b32 s16, s[0:1], 0x44
	s_load_b256 s[4:11], s[0:1], 0x0
	s_mov_b32 s18, s15
	s_mov_b32 s19, 0
	s_load_b128 s[0:3], s[0:1], 0x20
	s_lshl_b64 s[12:13], s[18:19], 3
	v_dual_mov_b32 v1, 0 :: v_dual_and_b32 v4, 0x3ff, v0
	v_bfe_u32 v0, v0, 10, 10
	s_delay_alu instid0(VALU_DEP_2)
	v_mov_b32_e32 v3, v1
	s_waitcnt lgkmcnt(0)
	s_lshr_b32 s15, s16, 16
	s_and_b32 s16, s16, 0xffff
	s_add_u32 s10, s10, s12
	s_addc_u32 s11, s11, s13
	s_lshl_b64 s[12:13], s[0:1], 2
	s_load_b64 s[10:11], s[10:11], 0x0
	v_mad_u32_u24 v2, v4, s15, v0
	s_mov_b32 s0, exec_lo
	s_waitcnt lgkmcnt(0)
	s_add_u32 s1, s10, s12
	s_addc_u32 s17, s11, s13
	s_lshl_b64 s[18:19], s[18:19], 2
	s_delay_alu instid0(SALU_CYCLE_1)
	s_add_u32 s8, s8, s18
	s_addc_u32 s9, s9, s19
	v_cmpx_gt_i64_e64 s[6:7], v[2:3]
	s_cbranch_execz .LBB11_2
; %bb.1:
	v_mad_u64_u32 v[5:6], null, v2, s2, 0
	s_lshl_b64 s[18:19], s[2:3], 2
	s_lshl_b32 s20, s16, 2
	s_add_u32 s18, s1, s18
	s_addc_u32 s19, s17, s19
	s_delay_alu instid0(VALU_DEP_1) | instskip(NEXT) | instid1(VALU_DEP_1)
	v_mov_b32_e32 v3, v6
	v_mad_u64_u32 v[6:7], null, v2, s3, v[3:4]
	v_lshlrev_b32_e32 v2, 2, v2
	s_delay_alu instid0(VALU_DEP_1) | instskip(NEXT) | instid1(VALU_DEP_3)
	v_add3_u32 v2, 0, s20, v2
	v_lshlrev_b64 v[5:6], 2, v[5:6]
	s_delay_alu instid0(VALU_DEP_1) | instskip(NEXT) | instid1(VALU_DEP_2)
	v_add_co_u32 v5, vcc_lo, s18, v5
	v_add_co_ci_u32_e32 v6, vcc_lo, s19, v6, vcc_lo
	global_load_b32 v3, v[5:6], off
	s_waitcnt vmcnt(0)
	ds_store_b32 v2, v3
.LBB11_2:
	s_or_b32 exec_lo, exec_lo, s0
	v_mov_b32_e32 v5, v1
	v_cmp_eq_u32_e64 s0, 0, v0
	s_delay_alu instid0(VALU_DEP_2) | instskip(SKIP_1) | instid1(VALU_DEP_2)
	v_mad_u64_u32 v[2:3], null, s16, s14, v[4:5]
	v_lshl_add_u32 v4, v4, 2, 0
	v_cmp_gt_i64_e32 vcc_lo, s[4:5], v[2:3]
	v_lshlrev_b64 v[2:3], 2, v[2:3]
	s_and_b32 s0, s0, vcc_lo
	s_delay_alu instid0(SALU_CYCLE_1)
	s_and_saveexec_b32 s4, s0
	s_cbranch_execz .LBB11_4
; %bb.3:
	s_delay_alu instid0(VALU_DEP_1) | instskip(NEXT) | instid1(VALU_DEP_1)
	v_add_co_u32 v5, s0, s1, v2
	v_add_co_ci_u32_e64 v6, s0, s17, v3, s0
	s_load_b32 s0, s[8:9], 0x0
	global_load_b32 v7, v[5:6], off offset:4
	s_waitcnt vmcnt(0) lgkmcnt(0)
	v_mul_f32_e32 v7, s0, v7
	ds_store_b32 v4, v7
	global_store_b32 v[5:6], v7, off offset:4
.LBB11_4:
	s_or_b32 exec_lo, exec_lo, s4
	v_cmp_gt_i64_e64 s0, s[6:7], v[0:1]
	s_waitcnt lgkmcnt(0)
	s_waitcnt_vscnt null, 0x0
	s_barrier
	buffer_gl0_inv
	s_and_b32 s0, vcc_lo, s0
	s_delay_alu instid0(SALU_CYCLE_1)
	s_and_saveexec_b32 s1, s0
	s_cbranch_execz .LBB11_7
; %bb.5:
	v_lshlrev_b32_e32 v9, 2, v0
	ds_load_b32 v4, v4
	s_lshl_b32 s4, s16, 2
	s_mul_i32 s0, s3, s15
	s_mul_hi_u32 s1, s2, s15
	v_add_nc_u32_e32 v10, 4, v9
	s_delay_alu instid0(VALU_DEP_1) | instskip(SKIP_1) | instid1(VALU_DEP_1)
	v_mad_u64_u32 v[5:6], null, s2, v10, s[12:13]
	s_mul_i32 s2, s2, s15
	v_mad_u64_u32 v[7:8], null, s3, v10, v[6:7]
	s_delay_alu instid0(VALU_DEP_2) | instskip(SKIP_3) | instid1(VALU_DEP_2)
	v_add_co_u32 v2, vcc_lo, v5, v2
	s_add_i32 s3, s1, s0
	s_mov_b32 s1, 0
	s_lshl_b64 s[2:3], s[2:3], 2
	v_mov_b32_e32 v6, v7
	v_add3_u32 v5, 0, s4, v9
	s_lshl_b32 s4, s15, 2
	s_delay_alu instid0(VALU_DEP_2) | instskip(SKIP_1) | instid1(VALU_DEP_2)
	v_add_co_ci_u32_e32 v3, vcc_lo, v6, v3, vcc_lo
	v_add_co_u32 v2, vcc_lo, v2, s10
	v_add_co_ci_u32_e32 v3, vcc_lo, s11, v3, vcc_lo
	s_delay_alu instid0(VALU_DEP_2) | instskip(NEXT) | instid1(VALU_DEP_2)
	v_add_co_u32 v2, vcc_lo, v2, 4
	v_add_co_ci_u32_e32 v3, vcc_lo, 0, v3, vcc_lo
	.p2align	6
.LBB11_6:                               ; =>This Inner Loop Header: Depth=1
	global_load_b32 v6, v[2:3], off
	ds_load_b32 v7, v5
	v_add_co_u32 v0, vcc_lo, v0, s15
	v_add_co_ci_u32_e32 v1, vcc_lo, 0, v1, vcc_lo
	v_add_nc_u32_e32 v5, s4, v5
	s_delay_alu instid0(VALU_DEP_2)
	v_cmp_le_i64_e32 vcc_lo, s[6:7], v[0:1]
	s_or_b32 s1, vcc_lo, s1
	s_waitcnt vmcnt(0) lgkmcnt(0)
	v_fma_f32 v6, -v4, v7, v6
	global_store_b32 v[2:3], v6, off
	v_add_co_u32 v2, s0, v2, s2
	s_delay_alu instid0(VALU_DEP_1)
	v_add_co_ci_u32_e64 v3, s0, s3, v3, s0
	s_and_not1_b32 exec_lo, exec_lo, s1
	s_cbranch_execnz .LBB11_6
.LBB11_7:
	s_nop 0
	s_sendmsg sendmsg(MSG_DEALLOC_VGPRS)
	s_endpgm
	.section	.rodata,"a",@progbits
	.p2align	6, 0x0
	.amdhsa_kernel _ZN9rocsolver6v33100L25getf2_scale_update_kernelIflPKPfEEvT0_S5_PT_T1_lS5_l
		.amdhsa_group_segment_fixed_size 0
		.amdhsa_private_segment_fixed_size 0
		.amdhsa_kernarg_size 312
		.amdhsa_user_sgpr_count 14
		.amdhsa_user_sgpr_dispatch_ptr 0
		.amdhsa_user_sgpr_queue_ptr 0
		.amdhsa_user_sgpr_kernarg_segment_ptr 1
		.amdhsa_user_sgpr_dispatch_id 0
		.amdhsa_user_sgpr_private_segment_size 0
		.amdhsa_wavefront_size32 1
		.amdhsa_uses_dynamic_stack 0
		.amdhsa_enable_private_segment 0
		.amdhsa_system_sgpr_workgroup_id_x 1
		.amdhsa_system_sgpr_workgroup_id_y 0
		.amdhsa_system_sgpr_workgroup_id_z 1
		.amdhsa_system_sgpr_workgroup_info 0
		.amdhsa_system_vgpr_workitem_id 1
		.amdhsa_next_free_vgpr 11
		.amdhsa_next_free_sgpr 21
		.amdhsa_reserve_vcc 1
		.amdhsa_float_round_mode_32 0
		.amdhsa_float_round_mode_16_64 0
		.amdhsa_float_denorm_mode_32 3
		.amdhsa_float_denorm_mode_16_64 3
		.amdhsa_dx10_clamp 1
		.amdhsa_ieee_mode 1
		.amdhsa_fp16_overflow 0
		.amdhsa_workgroup_processor_mode 1
		.amdhsa_memory_ordered 1
		.amdhsa_forward_progress 0
		.amdhsa_shared_vgpr_count 0
		.amdhsa_exception_fp_ieee_invalid_op 0
		.amdhsa_exception_fp_denorm_src 0
		.amdhsa_exception_fp_ieee_div_zero 0
		.amdhsa_exception_fp_ieee_overflow 0
		.amdhsa_exception_fp_ieee_underflow 0
		.amdhsa_exception_fp_ieee_inexact 0
		.amdhsa_exception_int_div_zero 0
	.end_amdhsa_kernel
	.section	.text._ZN9rocsolver6v33100L25getf2_scale_update_kernelIflPKPfEEvT0_S5_PT_T1_lS5_l,"axG",@progbits,_ZN9rocsolver6v33100L25getf2_scale_update_kernelIflPKPfEEvT0_S5_PT_T1_lS5_l,comdat
.Lfunc_end11:
	.size	_ZN9rocsolver6v33100L25getf2_scale_update_kernelIflPKPfEEvT0_S5_PT_T1_lS5_l, .Lfunc_end11-_ZN9rocsolver6v33100L25getf2_scale_update_kernelIflPKPfEEvT0_S5_PT_T1_lS5_l
                                        ; -- End function
	.section	.AMDGPU.csdata,"",@progbits
; Kernel info:
; codeLenInByte = 660
; NumSgprs: 23
; NumVgprs: 11
; ScratchSize: 0
; MemoryBound: 0
; FloatMode: 240
; IeeeMode: 1
; LDSByteSize: 0 bytes/workgroup (compile time only)
; SGPRBlocks: 2
; VGPRBlocks: 1
; NumSGPRsForWavesPerEU: 23
; NumVGPRsForWavesPerEU: 11
; Occupancy: 16
; WaveLimiterHint : 1
; COMPUTE_PGM_RSRC2:SCRATCH_EN: 0
; COMPUTE_PGM_RSRC2:USER_SGPR: 14
; COMPUTE_PGM_RSRC2:TRAP_HANDLER: 0
; COMPUTE_PGM_RSRC2:TGID_X_EN: 1
; COMPUTE_PGM_RSRC2:TGID_Y_EN: 0
; COMPUTE_PGM_RSRC2:TGID_Z_EN: 1
; COMPUTE_PGM_RSRC2:TIDIG_COMP_CNT: 1
	.text
	.p2alignl 7, 3214868480
	.fill 96, 4, 3214868480
	.type	__hip_cuid_8eb01c7f64976367,@object ; @__hip_cuid_8eb01c7f64976367
	.section	.bss,"aw",@nobits
	.globl	__hip_cuid_8eb01c7f64976367
__hip_cuid_8eb01c7f64976367:
	.byte	0                               ; 0x0
	.size	__hip_cuid_8eb01c7f64976367, 1

	.ident	"AMD clang version 19.0.0git (https://github.com/RadeonOpenCompute/llvm-project roc-6.4.0 25133 c7fe45cf4b819c5991fe208aaa96edf142730f1d)"
	.section	".note.GNU-stack","",@progbits
	.addrsig
	.addrsig_sym __hip_cuid_8eb01c7f64976367
	.amdgpu_metadata
---
amdhsa.kernels:
  - .args:
      - .offset:         0
        .size:           4
        .value_kind:     by_value
      - .offset:         4
        .size:           4
        .value_kind:     by_value
      - .address_space:  global
        .offset:         8
        .size:           8
        .value_kind:     global_buffer
      - .offset:         16
        .size:           8
        .value_kind:     by_value
      - .offset:         24
        .size:           4
        .value_kind:     by_value
      - .offset:         32
        .size:           8
        .value_kind:     by_value
      - .address_space:  global
        .offset:         40
        .size:           8
        .value_kind:     global_buffer
      - .offset:         48
        .size:           8
        .value_kind:     by_value
      - .offset:         56
        .size:           8
        .value_kind:     by_value
      - .address_space:  global
        .offset:         64
        .size:           8
        .value_kind:     global_buffer
      - .offset:         72
        .size:           4
        .value_kind:     by_value
      - .offset:         76
        .size:           4
        .value_kind:     by_value
      - .address_space:  global
        .offset:         80
        .size:           8
        .value_kind:     global_buffer
      - .offset:         88
        .size:           8
        .value_kind:     by_value
      - .offset:         96
        .size:           4
        .value_kind:     hidden_block_count_x
      - .offset:         100
        .size:           4
        .value_kind:     hidden_block_count_y
      - .offset:         104
        .size:           4
        .value_kind:     hidden_block_count_z
      - .offset:         108
        .size:           2
        .value_kind:     hidden_group_size_x
      - .offset:         110
        .size:           2
        .value_kind:     hidden_group_size_y
      - .offset:         112
        .size:           2
        .value_kind:     hidden_group_size_z
      - .offset:         114
        .size:           2
        .value_kind:     hidden_remainder_x
      - .offset:         116
        .size:           2
        .value_kind:     hidden_remainder_y
      - .offset:         118
        .size:           2
        .value_kind:     hidden_remainder_z
      - .offset:         136
        .size:           8
        .value_kind:     hidden_global_offset_x
      - .offset:         144
        .size:           8
        .value_kind:     hidden_global_offset_y
      - .offset:         152
        .size:           8
        .value_kind:     hidden_global_offset_z
      - .offset:         160
        .size:           2
        .value_kind:     hidden_grid_dims
      - .offset:         216
        .size:           4
        .value_kind:     hidden_dynamic_lds_size
    .group_segment_fixed_size: 8
    .kernarg_segment_align: 8
    .kernarg_segment_size: 352
    .language:       OpenCL C
    .language_version:
      - 2
      - 0
    .max_flat_workgroup_size: 1024
    .name:           _ZN9rocsolver6v33100L18getf2_panel_kernelIfiiPfEEvT0_S3_T2_lS3_lPS3_llPT1_S3_S3_S5_l
    .private_segment_fixed_size: 0
    .sgpr_count:     42
    .sgpr_spill_count: 0
    .symbol:         _ZN9rocsolver6v33100L18getf2_panel_kernelIfiiPfEEvT0_S3_T2_lS3_lPS3_llPT1_S3_S3_S5_l.kd
    .uniform_work_group_size: 1
    .uses_dynamic_stack: false
    .vgpr_count:     25
    .vgpr_spill_count: 0
    .wavefront_size: 32
    .workgroup_processor_mode: 1
  - .args:
      - .offset:         0
        .size:           4
        .value_kind:     by_value
      - .offset:         4
        .size:           4
        .value_kind:     by_value
      - .address_space:  global
        .offset:         8
        .size:           8
        .value_kind:     global_buffer
      - .offset:         16
        .size:           8
        .value_kind:     by_value
      - .offset:         24
        .size:           4
        .value_kind:     by_value
      - .offset:         32
        .size:           8
        .value_kind:     by_value
      - .address_space:  global
        .offset:         40
        .size:           8
        .value_kind:     global_buffer
      - .offset:         48
        .size:           4
        .value_kind:     by_value
      - .offset:         52
        .size:           4
        .value_kind:     by_value
      - .offset:         56
        .size:           4
        .value_kind:     hidden_block_count_x
      - .offset:         60
        .size:           4
        .value_kind:     hidden_block_count_y
      - .offset:         64
        .size:           4
        .value_kind:     hidden_block_count_z
      - .offset:         68
        .size:           2
        .value_kind:     hidden_group_size_x
      - .offset:         70
        .size:           2
        .value_kind:     hidden_group_size_y
      - .offset:         72
        .size:           2
        .value_kind:     hidden_group_size_z
      - .offset:         74
        .size:           2
        .value_kind:     hidden_remainder_x
      - .offset:         76
        .size:           2
        .value_kind:     hidden_remainder_y
      - .offset:         78
        .size:           2
        .value_kind:     hidden_remainder_z
      - .offset:         96
        .size:           8
        .value_kind:     hidden_global_offset_x
      - .offset:         104
        .size:           8
        .value_kind:     hidden_global_offset_y
      - .offset:         112
        .size:           8
        .value_kind:     hidden_global_offset_z
      - .offset:         120
        .size:           2
        .value_kind:     hidden_grid_dims
      - .offset:         176
        .size:           4
        .value_kind:     hidden_dynamic_lds_size
    .group_segment_fixed_size: 0
    .kernarg_segment_align: 8
    .kernarg_segment_size: 312
    .language:       OpenCL C
    .language_version:
      - 2
      - 0
    .max_flat_workgroup_size: 1024
    .name:           _ZN9rocsolver6v33100L23getf2_npvt_panel_kernelIfiiPfEEvT0_S3_T2_lS3_lPT1_S3_S3_
    .private_segment_fixed_size: 0
    .sgpr_count:     26
    .sgpr_spill_count: 0
    .symbol:         _ZN9rocsolver6v33100L23getf2_npvt_panel_kernelIfiiPfEEvT0_S3_T2_lS3_lPT1_S3_S3_.kd
    .uniform_work_group_size: 1
    .uses_dynamic_stack: false
    .vgpr_count:     17
    .vgpr_spill_count: 0
    .wavefront_size: 32
    .workgroup_processor_mode: 1
  - .args:
      - .offset:         0
        .size:           4
        .value_kind:     by_value
      - .offset:         4
        .size:           4
        .value_kind:     by_value
      - .address_space:  global
        .offset:         8
        .size:           8
        .value_kind:     global_buffer
      - .offset:         16
        .size:           8
        .value_kind:     by_value
      - .offset:         24
        .size:           4
        .value_kind:     by_value
      - .offset:         32
        .size:           8
        .value_kind:     by_value
      - .address_space:  global
        .offset:         40
        .size:           8
        .value_kind:     global_buffer
      - .offset:         48
        .size:           8
        .value_kind:     by_value
      - .offset:         56
        .size:           8
        .value_kind:     by_value
      - .address_space:  global
        .offset:         64
        .size:           8
        .value_kind:     global_buffer
      - .offset:         72
        .size:           4
        .value_kind:     by_value
      - .offset:         76
        .size:           4
        .value_kind:     by_value
      - .address_space:  global
        .offset:         80
        .size:           8
        .value_kind:     global_buffer
      - .offset:         88
        .size:           8
        .value_kind:     by_value
      - .offset:         96
        .size:           4
        .value_kind:     hidden_block_count_x
      - .offset:         100
        .size:           4
        .value_kind:     hidden_block_count_y
      - .offset:         104
        .size:           4
        .value_kind:     hidden_block_count_z
      - .offset:         108
        .size:           2
        .value_kind:     hidden_group_size_x
      - .offset:         110
        .size:           2
        .value_kind:     hidden_group_size_y
      - .offset:         112
        .size:           2
        .value_kind:     hidden_group_size_z
      - .offset:         114
        .size:           2
        .value_kind:     hidden_remainder_x
      - .offset:         116
        .size:           2
        .value_kind:     hidden_remainder_y
      - .offset:         118
        .size:           2
        .value_kind:     hidden_remainder_z
      - .offset:         136
        .size:           8
        .value_kind:     hidden_global_offset_x
      - .offset:         144
        .size:           8
        .value_kind:     hidden_global_offset_y
      - .offset:         152
        .size:           8
        .value_kind:     hidden_global_offset_z
      - .offset:         160
        .size:           2
        .value_kind:     hidden_grid_dims
      - .offset:         216
        .size:           4
        .value_kind:     hidden_dynamic_lds_size
    .group_segment_fixed_size: 8
    .kernarg_segment_align: 8
    .kernarg_segment_size: 352
    .language:       OpenCL C
    .language_version:
      - 2
      - 0
    .max_flat_workgroup_size: 1024
    .name:           _ZN9rocsolver6v33100L18getf2_panel_kernelIfiiPKPfEEvT0_S5_T2_lS5_lPS5_llPT1_S5_S5_S7_l
    .private_segment_fixed_size: 0
    .sgpr_count:     42
    .sgpr_spill_count: 0
    .symbol:         _ZN9rocsolver6v33100L18getf2_panel_kernelIfiiPKPfEEvT0_S5_T2_lS5_lPS5_llPT1_S5_S5_S7_l.kd
    .uniform_work_group_size: 1
    .uses_dynamic_stack: false
    .vgpr_count:     25
    .vgpr_spill_count: 0
    .wavefront_size: 32
    .workgroup_processor_mode: 1
  - .args:
      - .offset:         0
        .size:           4
        .value_kind:     by_value
      - .offset:         4
        .size:           4
        .value_kind:     by_value
      - .address_space:  global
        .offset:         8
        .size:           8
        .value_kind:     global_buffer
      - .offset:         16
        .size:           8
        .value_kind:     by_value
      - .offset:         24
        .size:           4
        .value_kind:     by_value
      - .offset:         32
        .size:           8
        .value_kind:     by_value
      - .address_space:  global
        .offset:         40
        .size:           8
        .value_kind:     global_buffer
      - .offset:         48
        .size:           4
        .value_kind:     by_value
      - .offset:         52
        .size:           4
        .value_kind:     by_value
      - .offset:         56
        .size:           4
        .value_kind:     hidden_block_count_x
      - .offset:         60
        .size:           4
        .value_kind:     hidden_block_count_y
      - .offset:         64
        .size:           4
        .value_kind:     hidden_block_count_z
      - .offset:         68
        .size:           2
        .value_kind:     hidden_group_size_x
      - .offset:         70
        .size:           2
        .value_kind:     hidden_group_size_y
      - .offset:         72
        .size:           2
        .value_kind:     hidden_group_size_z
      - .offset:         74
        .size:           2
        .value_kind:     hidden_remainder_x
      - .offset:         76
        .size:           2
        .value_kind:     hidden_remainder_y
      - .offset:         78
        .size:           2
        .value_kind:     hidden_remainder_z
      - .offset:         96
        .size:           8
        .value_kind:     hidden_global_offset_x
      - .offset:         104
        .size:           8
        .value_kind:     hidden_global_offset_y
      - .offset:         112
        .size:           8
        .value_kind:     hidden_global_offset_z
      - .offset:         120
        .size:           2
        .value_kind:     hidden_grid_dims
      - .offset:         176
        .size:           4
        .value_kind:     hidden_dynamic_lds_size
    .group_segment_fixed_size: 0
    .kernarg_segment_align: 8
    .kernarg_segment_size: 312
    .language:       OpenCL C
    .language_version:
      - 2
      - 0
    .max_flat_workgroup_size: 1024
    .name:           _ZN9rocsolver6v33100L23getf2_npvt_panel_kernelIfiiPKPfEEvT0_S5_T2_lS5_lPT1_S5_S5_
    .private_segment_fixed_size: 0
    .sgpr_count:     24
    .sgpr_spill_count: 0
    .symbol:         _ZN9rocsolver6v33100L23getf2_npvt_panel_kernelIfiiPKPfEEvT0_S5_T2_lS5_lPT1_S5_S5_.kd
    .uniform_work_group_size: 1
    .uses_dynamic_stack: false
    .vgpr_count:     17
    .vgpr_spill_count: 0
    .wavefront_size: 32
    .workgroup_processor_mode: 1
  - .args:
      - .offset:         0
        .size:           4
        .value_kind:     by_value
      - .offset:         4
        .size:           4
        .value_kind:     by_value
      - .address_space:  global
        .offset:         8
        .size:           8
        .value_kind:     global_buffer
      - .address_space:  global
        .offset:         16
        .size:           8
        .value_kind:     global_buffer
      - .offset:         24
        .size:           8
        .value_kind:     by_value
      - .offset:         32
        .size:           4
        .value_kind:     by_value
      - .offset:         40
        .size:           8
        .value_kind:     by_value
      - .offset:         48
        .size:           4
        .value_kind:     hidden_block_count_x
      - .offset:         52
        .size:           4
        .value_kind:     hidden_block_count_y
      - .offset:         56
        .size:           4
        .value_kind:     hidden_block_count_z
      - .offset:         60
        .size:           2
        .value_kind:     hidden_group_size_x
      - .offset:         62
        .size:           2
        .value_kind:     hidden_group_size_y
      - .offset:         64
        .size:           2
        .value_kind:     hidden_group_size_z
      - .offset:         66
        .size:           2
        .value_kind:     hidden_remainder_x
      - .offset:         68
        .size:           2
        .value_kind:     hidden_remainder_y
      - .offset:         70
        .size:           2
        .value_kind:     hidden_remainder_z
      - .offset:         88
        .size:           8
        .value_kind:     hidden_global_offset_x
      - .offset:         96
        .size:           8
        .value_kind:     hidden_global_offset_y
      - .offset:         104
        .size:           8
        .value_kind:     hidden_global_offset_z
      - .offset:         112
        .size:           2
        .value_kind:     hidden_grid_dims
      - .offset:         168
        .size:           4
        .value_kind:     hidden_dynamic_lds_size
    .group_segment_fixed_size: 0
    .kernarg_segment_align: 8
    .kernarg_segment_size: 304
    .language:       OpenCL C
    .language_version:
      - 2
      - 0
    .max_flat_workgroup_size: 1024
    .name:           _ZN9rocsolver6v33100L25getf2_scale_update_kernelIfiPfEEvT0_S3_PT_T1_lS3_l
    .private_segment_fixed_size: 0
    .sgpr_count:     22
    .sgpr_spill_count: 0
    .symbol:         _ZN9rocsolver6v33100L25getf2_scale_update_kernelIfiPfEEvT0_S3_PT_T1_lS3_l.kd
    .uniform_work_group_size: 1
    .uses_dynamic_stack: false
    .vgpr_count:     8
    .vgpr_spill_count: 0
    .wavefront_size: 32
    .workgroup_processor_mode: 1
  - .args:
      - .offset:         0
        .size:           4
        .value_kind:     by_value
      - .offset:         4
        .size:           4
        .value_kind:     by_value
      - .address_space:  global
        .offset:         8
        .size:           8
        .value_kind:     global_buffer
      - .address_space:  global
        .offset:         16
        .size:           8
        .value_kind:     global_buffer
      - .offset:         24
        .size:           8
        .value_kind:     by_value
      - .offset:         32
        .size:           4
        .value_kind:     by_value
      - .offset:         40
        .size:           8
        .value_kind:     by_value
      - .offset:         48
        .size:           4
        .value_kind:     hidden_block_count_x
      - .offset:         52
        .size:           4
        .value_kind:     hidden_block_count_y
      - .offset:         56
        .size:           4
        .value_kind:     hidden_block_count_z
      - .offset:         60
        .size:           2
        .value_kind:     hidden_group_size_x
      - .offset:         62
        .size:           2
        .value_kind:     hidden_group_size_y
      - .offset:         64
        .size:           2
        .value_kind:     hidden_group_size_z
      - .offset:         66
        .size:           2
        .value_kind:     hidden_remainder_x
      - .offset:         68
        .size:           2
        .value_kind:     hidden_remainder_y
      - .offset:         70
        .size:           2
        .value_kind:     hidden_remainder_z
      - .offset:         88
        .size:           8
        .value_kind:     hidden_global_offset_x
      - .offset:         96
        .size:           8
        .value_kind:     hidden_global_offset_y
      - .offset:         104
        .size:           8
        .value_kind:     hidden_global_offset_z
      - .offset:         112
        .size:           2
        .value_kind:     hidden_grid_dims
      - .offset:         168
        .size:           4
        .value_kind:     hidden_dynamic_lds_size
    .group_segment_fixed_size: 0
    .kernarg_segment_align: 8
    .kernarg_segment_size: 304
    .language:       OpenCL C
    .language_version:
      - 2
      - 0
    .max_flat_workgroup_size: 1024
    .name:           _ZN9rocsolver6v33100L25getf2_scale_update_kernelIfiPKPfEEvT0_S5_PT_T1_lS5_l
    .private_segment_fixed_size: 0
    .sgpr_count:     22
    .sgpr_spill_count: 0
    .symbol:         _ZN9rocsolver6v33100L25getf2_scale_update_kernelIfiPKPfEEvT0_S5_PT_T1_lS5_l.kd
    .uniform_work_group_size: 1
    .uses_dynamic_stack: false
    .vgpr_count:     8
    .vgpr_spill_count: 0
    .wavefront_size: 32
    .workgroup_processor_mode: 1
  - .args:
      - .offset:         0
        .size:           8
        .value_kind:     by_value
      - .offset:         8
        .size:           8
        .value_kind:     by_value
      - .address_space:  global
        .offset:         16
        .size:           8
        .value_kind:     global_buffer
      - .offset:         24
        .size:           8
        .value_kind:     by_value
      - .offset:         32
        .size:           8
        .value_kind:     by_value
      - .offset:         40
        .size:           8
        .value_kind:     by_value
      - .address_space:  global
        .offset:         48
        .size:           8
        .value_kind:     global_buffer
      - .offset:         56
        .size:           8
        .value_kind:     by_value
      - .offset:         64
        .size:           8
        .value_kind:     by_value
      - .address_space:  global
        .offset:         72
        .size:           8
        .value_kind:     global_buffer
      - .offset:         80
        .size:           8
        .value_kind:     by_value
      - .offset:         88
        .size:           8
        .value_kind:     by_value
      - .address_space:  global
        .offset:         96
        .size:           8
        .value_kind:     global_buffer
      - .offset:         104
        .size:           8
        .value_kind:     by_value
      - .offset:         112
        .size:           4
        .value_kind:     hidden_block_count_x
      - .offset:         116
        .size:           4
        .value_kind:     hidden_block_count_y
      - .offset:         120
        .size:           4
        .value_kind:     hidden_block_count_z
      - .offset:         124
        .size:           2
        .value_kind:     hidden_group_size_x
      - .offset:         126
        .size:           2
        .value_kind:     hidden_group_size_y
      - .offset:         128
        .size:           2
        .value_kind:     hidden_group_size_z
      - .offset:         130
        .size:           2
        .value_kind:     hidden_remainder_x
      - .offset:         132
        .size:           2
        .value_kind:     hidden_remainder_y
      - .offset:         134
        .size:           2
        .value_kind:     hidden_remainder_z
      - .offset:         152
        .size:           8
        .value_kind:     hidden_global_offset_x
      - .offset:         160
        .size:           8
        .value_kind:     hidden_global_offset_y
      - .offset:         168
        .size:           8
        .value_kind:     hidden_global_offset_z
      - .offset:         176
        .size:           2
        .value_kind:     hidden_grid_dims
      - .offset:         232
        .size:           4
        .value_kind:     hidden_dynamic_lds_size
    .group_segment_fixed_size: 8
    .kernarg_segment_align: 8
    .kernarg_segment_size: 368
    .language:       OpenCL C
    .language_version:
      - 2
      - 0
    .max_flat_workgroup_size: 1024
    .name:           _ZN9rocsolver6v33100L18getf2_panel_kernelIfllPfEEvT0_S3_T2_lS3_lPS3_llPT1_S3_S3_S5_l
    .private_segment_fixed_size: 0
    .sgpr_count:     52
    .sgpr_spill_count: 0
    .symbol:         _ZN9rocsolver6v33100L18getf2_panel_kernelIfllPfEEvT0_S3_T2_lS3_lPS3_llPT1_S3_S3_S5_l.kd
    .uniform_work_group_size: 1
    .uses_dynamic_stack: false
    .vgpr_count:     27
    .vgpr_spill_count: 0
    .wavefront_size: 32
    .workgroup_processor_mode: 1
  - .args:
      - .offset:         0
        .size:           8
        .value_kind:     by_value
      - .offset:         8
        .size:           8
        .value_kind:     by_value
      - .address_space:  global
        .offset:         16
        .size:           8
        .value_kind:     global_buffer
      - .offset:         24
        .size:           8
        .value_kind:     by_value
      - .offset:         32
        .size:           8
        .value_kind:     by_value
      - .offset:         40
        .size:           8
        .value_kind:     by_value
      - .address_space:  global
        .offset:         48
        .size:           8
        .value_kind:     global_buffer
      - .offset:         56
        .size:           8
        .value_kind:     by_value
      - .offset:         64
        .size:           8
        .value_kind:     by_value
      - .offset:         72
        .size:           4
        .value_kind:     hidden_block_count_x
      - .offset:         76
        .size:           4
        .value_kind:     hidden_block_count_y
      - .offset:         80
        .size:           4
        .value_kind:     hidden_block_count_z
      - .offset:         84
        .size:           2
        .value_kind:     hidden_group_size_x
      - .offset:         86
        .size:           2
        .value_kind:     hidden_group_size_y
      - .offset:         88
        .size:           2
        .value_kind:     hidden_group_size_z
      - .offset:         90
        .size:           2
        .value_kind:     hidden_remainder_x
      - .offset:         92
        .size:           2
        .value_kind:     hidden_remainder_y
      - .offset:         94
        .size:           2
        .value_kind:     hidden_remainder_z
      - .offset:         112
        .size:           8
        .value_kind:     hidden_global_offset_x
      - .offset:         120
        .size:           8
        .value_kind:     hidden_global_offset_y
      - .offset:         128
        .size:           8
        .value_kind:     hidden_global_offset_z
      - .offset:         136
        .size:           2
        .value_kind:     hidden_grid_dims
      - .offset:         192
        .size:           4
        .value_kind:     hidden_dynamic_lds_size
    .group_segment_fixed_size: 0
    .kernarg_segment_align: 8
    .kernarg_segment_size: 328
    .language:       OpenCL C
    .language_version:
      - 2
      - 0
    .max_flat_workgroup_size: 1024
    .name:           _ZN9rocsolver6v33100L23getf2_npvt_panel_kernelIfllPfEEvT0_S3_T2_lS3_lPT1_S3_S3_
    .private_segment_fixed_size: 0
    .sgpr_count:     34
    .sgpr_spill_count: 0
    .symbol:         _ZN9rocsolver6v33100L23getf2_npvt_panel_kernelIfllPfEEvT0_S3_T2_lS3_lPT1_S3_S3_.kd
    .uniform_work_group_size: 1
    .uses_dynamic_stack: false
    .vgpr_count:     21
    .vgpr_spill_count: 0
    .wavefront_size: 32
    .workgroup_processor_mode: 1
  - .args:
      - .offset:         0
        .size:           8
        .value_kind:     by_value
      - .offset:         8
        .size:           8
        .value_kind:     by_value
      - .address_space:  global
        .offset:         16
        .size:           8
        .value_kind:     global_buffer
      - .offset:         24
        .size:           8
        .value_kind:     by_value
      - .offset:         32
        .size:           8
        .value_kind:     by_value
      - .offset:         40
        .size:           8
        .value_kind:     by_value
      - .address_space:  global
        .offset:         48
        .size:           8
        .value_kind:     global_buffer
      - .offset:         56
        .size:           8
        .value_kind:     by_value
      - .offset:         64
        .size:           8
        .value_kind:     by_value
      - .address_space:  global
        .offset:         72
        .size:           8
        .value_kind:     global_buffer
      - .offset:         80
        .size:           8
        .value_kind:     by_value
      - .offset:         88
        .size:           8
        .value_kind:     by_value
      - .address_space:  global
        .offset:         96
        .size:           8
        .value_kind:     global_buffer
      - .offset:         104
        .size:           8
        .value_kind:     by_value
      - .offset:         112
        .size:           4
        .value_kind:     hidden_block_count_x
      - .offset:         116
        .size:           4
        .value_kind:     hidden_block_count_y
      - .offset:         120
        .size:           4
        .value_kind:     hidden_block_count_z
      - .offset:         124
        .size:           2
        .value_kind:     hidden_group_size_x
      - .offset:         126
        .size:           2
        .value_kind:     hidden_group_size_y
      - .offset:         128
        .size:           2
        .value_kind:     hidden_group_size_z
      - .offset:         130
        .size:           2
        .value_kind:     hidden_remainder_x
      - .offset:         132
        .size:           2
        .value_kind:     hidden_remainder_y
      - .offset:         134
        .size:           2
        .value_kind:     hidden_remainder_z
      - .offset:         152
        .size:           8
        .value_kind:     hidden_global_offset_x
      - .offset:         160
        .size:           8
        .value_kind:     hidden_global_offset_y
      - .offset:         168
        .size:           8
        .value_kind:     hidden_global_offset_z
      - .offset:         176
        .size:           2
        .value_kind:     hidden_grid_dims
      - .offset:         232
        .size:           4
        .value_kind:     hidden_dynamic_lds_size
    .group_segment_fixed_size: 8
    .kernarg_segment_align: 8
    .kernarg_segment_size: 368
    .language:       OpenCL C
    .language_version:
      - 2
      - 0
    .max_flat_workgroup_size: 1024
    .name:           _ZN9rocsolver6v33100L18getf2_panel_kernelIfllPKPfEEvT0_S5_T2_lS5_lPS5_llPT1_S5_S5_S7_l
    .private_segment_fixed_size: 0
    .sgpr_count:     52
    .sgpr_spill_count: 0
    .symbol:         _ZN9rocsolver6v33100L18getf2_panel_kernelIfllPKPfEEvT0_S5_T2_lS5_lPS5_llPT1_S5_S5_S7_l.kd
    .uniform_work_group_size: 1
    .uses_dynamic_stack: false
    .vgpr_count:     27
    .vgpr_spill_count: 0
    .wavefront_size: 32
    .workgroup_processor_mode: 1
  - .args:
      - .offset:         0
        .size:           8
        .value_kind:     by_value
      - .offset:         8
        .size:           8
        .value_kind:     by_value
      - .address_space:  global
        .offset:         16
        .size:           8
        .value_kind:     global_buffer
      - .offset:         24
        .size:           8
        .value_kind:     by_value
      - .offset:         32
        .size:           8
        .value_kind:     by_value
      - .offset:         40
        .size:           8
        .value_kind:     by_value
      - .address_space:  global
        .offset:         48
        .size:           8
        .value_kind:     global_buffer
      - .offset:         56
        .size:           8
        .value_kind:     by_value
      - .offset:         64
        .size:           8
        .value_kind:     by_value
      - .offset:         72
        .size:           4
        .value_kind:     hidden_block_count_x
      - .offset:         76
        .size:           4
        .value_kind:     hidden_block_count_y
      - .offset:         80
        .size:           4
        .value_kind:     hidden_block_count_z
      - .offset:         84
        .size:           2
        .value_kind:     hidden_group_size_x
      - .offset:         86
        .size:           2
        .value_kind:     hidden_group_size_y
      - .offset:         88
        .size:           2
        .value_kind:     hidden_group_size_z
      - .offset:         90
        .size:           2
        .value_kind:     hidden_remainder_x
      - .offset:         92
        .size:           2
        .value_kind:     hidden_remainder_y
      - .offset:         94
        .size:           2
        .value_kind:     hidden_remainder_z
      - .offset:         112
        .size:           8
        .value_kind:     hidden_global_offset_x
      - .offset:         120
        .size:           8
        .value_kind:     hidden_global_offset_y
      - .offset:         128
        .size:           8
        .value_kind:     hidden_global_offset_z
      - .offset:         136
        .size:           2
        .value_kind:     hidden_grid_dims
      - .offset:         192
        .size:           4
        .value_kind:     hidden_dynamic_lds_size
    .group_segment_fixed_size: 0
    .kernarg_segment_align: 8
    .kernarg_segment_size: 328
    .language:       OpenCL C
    .language_version:
      - 2
      - 0
    .max_flat_workgroup_size: 1024
    .name:           _ZN9rocsolver6v33100L23getf2_npvt_panel_kernelIfllPKPfEEvT0_S5_T2_lS5_lPT1_S5_S5_
    .private_segment_fixed_size: 0
    .sgpr_count:     32
    .sgpr_spill_count: 0
    .symbol:         _ZN9rocsolver6v33100L23getf2_npvt_panel_kernelIfllPKPfEEvT0_S5_T2_lS5_lPT1_S5_S5_.kd
    .uniform_work_group_size: 1
    .uses_dynamic_stack: false
    .vgpr_count:     21
    .vgpr_spill_count: 0
    .wavefront_size: 32
    .workgroup_processor_mode: 1
  - .args:
      - .offset:         0
        .size:           8
        .value_kind:     by_value
      - .offset:         8
        .size:           8
        .value_kind:     by_value
      - .address_space:  global
        .offset:         16
        .size:           8
        .value_kind:     global_buffer
      - .address_space:  global
        .offset:         24
        .size:           8
        .value_kind:     global_buffer
      - .offset:         32
        .size:           8
        .value_kind:     by_value
      - .offset:         40
        .size:           8
        .value_kind:     by_value
      - .offset:         48
        .size:           8
        .value_kind:     by_value
      - .offset:         56
        .size:           4
        .value_kind:     hidden_block_count_x
      - .offset:         60
        .size:           4
        .value_kind:     hidden_block_count_y
      - .offset:         64
        .size:           4
        .value_kind:     hidden_block_count_z
      - .offset:         68
        .size:           2
        .value_kind:     hidden_group_size_x
      - .offset:         70
        .size:           2
        .value_kind:     hidden_group_size_y
      - .offset:         72
        .size:           2
        .value_kind:     hidden_group_size_z
      - .offset:         74
        .size:           2
        .value_kind:     hidden_remainder_x
      - .offset:         76
        .size:           2
        .value_kind:     hidden_remainder_y
      - .offset:         78
        .size:           2
        .value_kind:     hidden_remainder_z
      - .offset:         96
        .size:           8
        .value_kind:     hidden_global_offset_x
      - .offset:         104
        .size:           8
        .value_kind:     hidden_global_offset_y
      - .offset:         112
        .size:           8
        .value_kind:     hidden_global_offset_z
      - .offset:         120
        .size:           2
        .value_kind:     hidden_grid_dims
      - .offset:         176
        .size:           4
        .value_kind:     hidden_dynamic_lds_size
    .group_segment_fixed_size: 0
    .kernarg_segment_align: 8
    .kernarg_segment_size: 312
    .language:       OpenCL C
    .language_version:
      - 2
      - 0
    .max_flat_workgroup_size: 1024
    .name:           _ZN9rocsolver6v33100L25getf2_scale_update_kernelIflPfEEvT0_S3_PT_T1_lS3_l
    .private_segment_fixed_size: 0
    .sgpr_count:     28
    .sgpr_spill_count: 0
    .symbol:         _ZN9rocsolver6v33100L25getf2_scale_update_kernelIflPfEEvT0_S3_PT_T1_lS3_l.kd
    .uniform_work_group_size: 1
    .uses_dynamic_stack: false
    .vgpr_count:     11
    .vgpr_spill_count: 0
    .wavefront_size: 32
    .workgroup_processor_mode: 1
  - .args:
      - .offset:         0
        .size:           8
        .value_kind:     by_value
      - .offset:         8
        .size:           8
        .value_kind:     by_value
      - .address_space:  global
        .offset:         16
        .size:           8
        .value_kind:     global_buffer
      - .address_space:  global
        .offset:         24
        .size:           8
        .value_kind:     global_buffer
      - .offset:         32
        .size:           8
        .value_kind:     by_value
      - .offset:         40
        .size:           8
        .value_kind:     by_value
      - .offset:         48
        .size:           8
        .value_kind:     by_value
      - .offset:         56
        .size:           4
        .value_kind:     hidden_block_count_x
      - .offset:         60
        .size:           4
        .value_kind:     hidden_block_count_y
      - .offset:         64
        .size:           4
        .value_kind:     hidden_block_count_z
      - .offset:         68
        .size:           2
        .value_kind:     hidden_group_size_x
      - .offset:         70
        .size:           2
        .value_kind:     hidden_group_size_y
      - .offset:         72
        .size:           2
        .value_kind:     hidden_group_size_z
      - .offset:         74
        .size:           2
        .value_kind:     hidden_remainder_x
      - .offset:         76
        .size:           2
        .value_kind:     hidden_remainder_y
      - .offset:         78
        .size:           2
        .value_kind:     hidden_remainder_z
      - .offset:         96
        .size:           8
        .value_kind:     hidden_global_offset_x
      - .offset:         104
        .size:           8
        .value_kind:     hidden_global_offset_y
      - .offset:         112
        .size:           8
        .value_kind:     hidden_global_offset_z
      - .offset:         120
        .size:           2
        .value_kind:     hidden_grid_dims
      - .offset:         176
        .size:           4
        .value_kind:     hidden_dynamic_lds_size
    .group_segment_fixed_size: 0
    .kernarg_segment_align: 8
    .kernarg_segment_size: 312
    .language:       OpenCL C
    .language_version:
      - 2
      - 0
    .max_flat_workgroup_size: 1024
    .name:           _ZN9rocsolver6v33100L25getf2_scale_update_kernelIflPKPfEEvT0_S5_PT_T1_lS5_l
    .private_segment_fixed_size: 0
    .sgpr_count:     23
    .sgpr_spill_count: 0
    .symbol:         _ZN9rocsolver6v33100L25getf2_scale_update_kernelIflPKPfEEvT0_S5_PT_T1_lS5_l.kd
    .uniform_work_group_size: 1
    .uses_dynamic_stack: false
    .vgpr_count:     11
    .vgpr_spill_count: 0
    .wavefront_size: 32
    .workgroup_processor_mode: 1
amdhsa.target:   amdgcn-amd-amdhsa--gfx1100
amdhsa.version:
  - 1
  - 2
...

	.end_amdgpu_metadata
